;; amdgpu-corpus repo=ROCm/rocFFT kind=compiled arch=gfx1100 opt=O3
	.text
	.amdgcn_target "amdgcn-amd-amdhsa--gfx1100"
	.amdhsa_code_object_version 6
	.protected	fft_rtc_fwd_len238_factors_17_7_2_wgs_51_tpt_17_halfLds_dp_op_CI_CI_unitstride_sbrr_C2R_dirReg ; -- Begin function fft_rtc_fwd_len238_factors_17_7_2_wgs_51_tpt_17_halfLds_dp_op_CI_CI_unitstride_sbrr_C2R_dirReg
	.globl	fft_rtc_fwd_len238_factors_17_7_2_wgs_51_tpt_17_halfLds_dp_op_CI_CI_unitstride_sbrr_C2R_dirReg
	.p2align	8
	.type	fft_rtc_fwd_len238_factors_17_7_2_wgs_51_tpt_17_halfLds_dp_op_CI_CI_unitstride_sbrr_C2R_dirReg,@function
fft_rtc_fwd_len238_factors_17_7_2_wgs_51_tpt_17_halfLds_dp_op_CI_CI_unitstride_sbrr_C2R_dirReg: ; @fft_rtc_fwd_len238_factors_17_7_2_wgs_51_tpt_17_halfLds_dp_op_CI_CI_unitstride_sbrr_C2R_dirReg
; %bb.0:
	s_load_b128 s[8:11], s[0:1], 0x0
	v_mul_u32_u24_e32 v1, 0xf10, v0
	s_clause 0x1
	s_load_b128 s[4:7], s[0:1], 0x58
	s_load_b128 s[16:19], s[0:1], 0x18
	v_mov_b32_e32 v5, 0
	v_lshrrev_b32_e32 v6, 16, v1
	v_mov_b32_e32 v1, 0
	v_mov_b32_e32 v2, 0
	s_delay_alu instid0(VALU_DEP_3) | instskip(NEXT) | instid1(VALU_DEP_2)
	v_mad_u64_u32 v[3:4], null, s15, 3, v[6:7]
	v_dual_mov_b32 v4, v5 :: v_dual_mov_b32 v69, v2
	s_delay_alu instid0(VALU_DEP_1) | instskip(NEXT) | instid1(VALU_DEP_3)
	v_dual_mov_b32 v68, v1 :: v_dual_mov_b32 v73, v4
	v_mov_b32_e32 v72, v3
	s_waitcnt lgkmcnt(0)
	v_cmp_lt_u64_e64 s2, s[10:11], 2
	s_delay_alu instid0(VALU_DEP_1)
	s_and_b32 vcc_lo, exec_lo, s2
	s_cbranch_vccnz .LBB0_8
; %bb.1:
	s_load_b64 s[2:3], s[0:1], 0x10
	v_dual_mov_b32 v1, 0 :: v_dual_mov_b32 v8, v4
	v_dual_mov_b32 v2, 0 :: v_dual_mov_b32 v7, v3
	s_add_u32 s12, s18, 8
	s_addc_u32 s13, s19, 0
	s_add_u32 s14, s16, 8
	s_delay_alu instid0(VALU_DEP_1)
	v_dual_mov_b32 v69, v2 :: v_dual_mov_b32 v68, v1
	s_addc_u32 s15, s17, 0
	s_mov_b64 s[22:23], 1
	s_waitcnt lgkmcnt(0)
	s_add_u32 s20, s2, 8
	s_addc_u32 s21, s3, 0
.LBB0_2:                                ; =>This Inner Loop Header: Depth=1
	s_load_b64 s[24:25], s[20:21], 0x0
                                        ; implicit-def: $vgpr72_vgpr73
	s_mov_b32 s2, exec_lo
	s_waitcnt lgkmcnt(0)
	v_or_b32_e32 v6, s25, v8
	s_delay_alu instid0(VALU_DEP_1)
	v_cmpx_ne_u64_e32 0, v[5:6]
	s_xor_b32 s3, exec_lo, s2
	s_cbranch_execz .LBB0_4
; %bb.3:                                ;   in Loop: Header=BB0_2 Depth=1
	v_cvt_f32_u32_e32 v4, s24
	v_cvt_f32_u32_e32 v6, s25
	s_sub_u32 s2, 0, s24
	s_subb_u32 s26, 0, s25
	s_delay_alu instid0(VALU_DEP_1) | instskip(NEXT) | instid1(VALU_DEP_1)
	v_fmac_f32_e32 v4, 0x4f800000, v6
	v_rcp_f32_e32 v4, v4
	s_waitcnt_depctr 0xfff
	v_mul_f32_e32 v4, 0x5f7ffffc, v4
	s_delay_alu instid0(VALU_DEP_1) | instskip(NEXT) | instid1(VALU_DEP_1)
	v_mul_f32_e32 v6, 0x2f800000, v4
	v_trunc_f32_e32 v6, v6
	s_delay_alu instid0(VALU_DEP_1) | instskip(SKIP_1) | instid1(VALU_DEP_2)
	v_fmac_f32_e32 v4, 0xcf800000, v6
	v_cvt_u32_f32_e32 v6, v6
	v_cvt_u32_f32_e32 v4, v4
	s_delay_alu instid0(VALU_DEP_2) | instskip(NEXT) | instid1(VALU_DEP_2)
	v_mul_lo_u32 v9, s2, v6
	v_mul_hi_u32 v10, s2, v4
	v_mul_lo_u32 v11, s26, v4
	s_delay_alu instid0(VALU_DEP_2) | instskip(SKIP_1) | instid1(VALU_DEP_2)
	v_add_nc_u32_e32 v9, v10, v9
	v_mul_lo_u32 v10, s2, v4
	v_add_nc_u32_e32 v9, v9, v11
	s_delay_alu instid0(VALU_DEP_2) | instskip(NEXT) | instid1(VALU_DEP_2)
	v_mul_hi_u32 v11, v4, v10
	v_mul_lo_u32 v12, v4, v9
	v_mul_hi_u32 v13, v4, v9
	v_mul_hi_u32 v14, v6, v10
	v_mul_lo_u32 v10, v6, v10
	v_mul_hi_u32 v15, v6, v9
	v_mul_lo_u32 v9, v6, v9
	v_add_co_u32 v11, vcc_lo, v11, v12
	v_add_co_ci_u32_e32 v12, vcc_lo, 0, v13, vcc_lo
	s_delay_alu instid0(VALU_DEP_2) | instskip(NEXT) | instid1(VALU_DEP_2)
	v_add_co_u32 v10, vcc_lo, v11, v10
	v_add_co_ci_u32_e32 v10, vcc_lo, v12, v14, vcc_lo
	v_add_co_ci_u32_e32 v11, vcc_lo, 0, v15, vcc_lo
	s_delay_alu instid0(VALU_DEP_2) | instskip(NEXT) | instid1(VALU_DEP_2)
	v_add_co_u32 v9, vcc_lo, v10, v9
	v_add_co_ci_u32_e32 v10, vcc_lo, 0, v11, vcc_lo
	s_delay_alu instid0(VALU_DEP_2) | instskip(NEXT) | instid1(VALU_DEP_2)
	v_add_co_u32 v4, vcc_lo, v4, v9
	v_add_co_ci_u32_e32 v6, vcc_lo, v6, v10, vcc_lo
	s_delay_alu instid0(VALU_DEP_2) | instskip(SKIP_1) | instid1(VALU_DEP_3)
	v_mul_hi_u32 v9, s2, v4
	v_mul_lo_u32 v11, s26, v4
	v_mul_lo_u32 v10, s2, v6
	s_delay_alu instid0(VALU_DEP_1) | instskip(SKIP_1) | instid1(VALU_DEP_2)
	v_add_nc_u32_e32 v9, v9, v10
	v_mul_lo_u32 v10, s2, v4
	v_add_nc_u32_e32 v9, v9, v11
	s_delay_alu instid0(VALU_DEP_2) | instskip(NEXT) | instid1(VALU_DEP_2)
	v_mul_hi_u32 v11, v4, v10
	v_mul_lo_u32 v12, v4, v9
	v_mul_hi_u32 v13, v4, v9
	v_mul_hi_u32 v14, v6, v10
	v_mul_lo_u32 v10, v6, v10
	v_mul_hi_u32 v15, v6, v9
	v_mul_lo_u32 v9, v6, v9
	v_add_co_u32 v11, vcc_lo, v11, v12
	v_add_co_ci_u32_e32 v12, vcc_lo, 0, v13, vcc_lo
	s_delay_alu instid0(VALU_DEP_2) | instskip(NEXT) | instid1(VALU_DEP_2)
	v_add_co_u32 v10, vcc_lo, v11, v10
	v_add_co_ci_u32_e32 v10, vcc_lo, v12, v14, vcc_lo
	v_add_co_ci_u32_e32 v11, vcc_lo, 0, v15, vcc_lo
	s_delay_alu instid0(VALU_DEP_2) | instskip(NEXT) | instid1(VALU_DEP_2)
	v_add_co_u32 v9, vcc_lo, v10, v9
	v_add_co_ci_u32_e32 v10, vcc_lo, 0, v11, vcc_lo
	s_delay_alu instid0(VALU_DEP_2) | instskip(NEXT) | instid1(VALU_DEP_2)
	v_add_co_u32 v4, vcc_lo, v4, v9
	v_add_co_ci_u32_e32 v6, vcc_lo, v6, v10, vcc_lo
	s_delay_alu instid0(VALU_DEP_2) | instskip(SKIP_1) | instid1(VALU_DEP_3)
	v_mul_hi_u32 v15, v7, v4
	v_mad_u64_u32 v[11:12], null, v8, v4, 0
	v_mad_u64_u32 v[9:10], null, v7, v6, 0
	;; [unrolled: 1-line block ×3, first 2 shown]
	s_delay_alu instid0(VALU_DEP_2) | instskip(NEXT) | instid1(VALU_DEP_3)
	v_add_co_u32 v4, vcc_lo, v15, v9
	v_add_co_ci_u32_e32 v6, vcc_lo, 0, v10, vcc_lo
	s_delay_alu instid0(VALU_DEP_2) | instskip(NEXT) | instid1(VALU_DEP_2)
	v_add_co_u32 v4, vcc_lo, v4, v11
	v_add_co_ci_u32_e32 v4, vcc_lo, v6, v12, vcc_lo
	v_add_co_ci_u32_e32 v6, vcc_lo, 0, v14, vcc_lo
	s_delay_alu instid0(VALU_DEP_2) | instskip(NEXT) | instid1(VALU_DEP_2)
	v_add_co_u32 v4, vcc_lo, v4, v13
	v_add_co_ci_u32_e32 v6, vcc_lo, 0, v6, vcc_lo
	s_delay_alu instid0(VALU_DEP_2) | instskip(SKIP_1) | instid1(VALU_DEP_3)
	v_mul_lo_u32 v11, s25, v4
	v_mad_u64_u32 v[9:10], null, s24, v4, 0
	v_mul_lo_u32 v12, s24, v6
	s_delay_alu instid0(VALU_DEP_2) | instskip(NEXT) | instid1(VALU_DEP_2)
	v_sub_co_u32 v9, vcc_lo, v7, v9
	v_add3_u32 v10, v10, v12, v11
	s_delay_alu instid0(VALU_DEP_1) | instskip(NEXT) | instid1(VALU_DEP_1)
	v_sub_nc_u32_e32 v11, v8, v10
	v_subrev_co_ci_u32_e64 v11, s2, s25, v11, vcc_lo
	v_add_co_u32 v12, s2, v4, 2
	s_delay_alu instid0(VALU_DEP_1) | instskip(SKIP_3) | instid1(VALU_DEP_3)
	v_add_co_ci_u32_e64 v13, s2, 0, v6, s2
	v_sub_co_u32 v14, s2, v9, s24
	v_sub_co_ci_u32_e32 v10, vcc_lo, v8, v10, vcc_lo
	v_subrev_co_ci_u32_e64 v11, s2, 0, v11, s2
	v_cmp_le_u32_e32 vcc_lo, s24, v14
	s_delay_alu instid0(VALU_DEP_3) | instskip(SKIP_1) | instid1(VALU_DEP_4)
	v_cmp_eq_u32_e64 s2, s25, v10
	v_cndmask_b32_e64 v14, 0, -1, vcc_lo
	v_cmp_le_u32_e32 vcc_lo, s25, v11
	v_cndmask_b32_e64 v15, 0, -1, vcc_lo
	v_cmp_le_u32_e32 vcc_lo, s24, v9
	;; [unrolled: 2-line block ×3, first 2 shown]
	v_cndmask_b32_e64 v16, 0, -1, vcc_lo
	v_cmp_eq_u32_e32 vcc_lo, s25, v11
	s_delay_alu instid0(VALU_DEP_2) | instskip(SKIP_3) | instid1(VALU_DEP_3)
	v_cndmask_b32_e64 v9, v16, v9, s2
	v_cndmask_b32_e32 v11, v15, v14, vcc_lo
	v_add_co_u32 v14, vcc_lo, v4, 1
	v_add_co_ci_u32_e32 v15, vcc_lo, 0, v6, vcc_lo
	v_cmp_ne_u32_e32 vcc_lo, 0, v11
	s_delay_alu instid0(VALU_DEP_2) | instskip(SKIP_1) | instid1(VALU_DEP_2)
	v_dual_cndmask_b32 v10, v15, v13 :: v_dual_cndmask_b32 v11, v14, v12
	v_cmp_ne_u32_e32 vcc_lo, 0, v9
	v_dual_cndmask_b32 v73, v6, v10 :: v_dual_cndmask_b32 v72, v4, v11
.LBB0_4:                                ;   in Loop: Header=BB0_2 Depth=1
	s_and_not1_saveexec_b32 s2, s3
	s_cbranch_execz .LBB0_6
; %bb.5:                                ;   in Loop: Header=BB0_2 Depth=1
	v_cvt_f32_u32_e32 v4, s24
	s_sub_i32 s3, 0, s24
	v_mov_b32_e32 v73, v5
	s_delay_alu instid0(VALU_DEP_2) | instskip(SKIP_2) | instid1(VALU_DEP_1)
	v_rcp_iflag_f32_e32 v4, v4
	s_waitcnt_depctr 0xfff
	v_mul_f32_e32 v4, 0x4f7ffffe, v4
	v_cvt_u32_f32_e32 v4, v4
	s_delay_alu instid0(VALU_DEP_1) | instskip(NEXT) | instid1(VALU_DEP_1)
	v_mul_lo_u32 v6, s3, v4
	v_mul_hi_u32 v6, v4, v6
	s_delay_alu instid0(VALU_DEP_1) | instskip(NEXT) | instid1(VALU_DEP_1)
	v_add_nc_u32_e32 v4, v4, v6
	v_mul_hi_u32 v4, v7, v4
	s_delay_alu instid0(VALU_DEP_1) | instskip(NEXT) | instid1(VALU_DEP_1)
	v_mul_lo_u32 v6, v4, s24
	v_sub_nc_u32_e32 v6, v7, v6
	s_delay_alu instid0(VALU_DEP_1) | instskip(SKIP_1) | instid1(VALU_DEP_2)
	v_subrev_nc_u32_e32 v10, s24, v6
	v_cmp_le_u32_e32 vcc_lo, s24, v6
	v_dual_cndmask_b32 v6, v6, v10 :: v_dual_add_nc_u32 v9, 1, v4
	s_delay_alu instid0(VALU_DEP_1) | instskip(NEXT) | instid1(VALU_DEP_2)
	v_cndmask_b32_e32 v4, v4, v9, vcc_lo
	v_cmp_le_u32_e32 vcc_lo, s24, v6
	s_delay_alu instid0(VALU_DEP_2) | instskip(NEXT) | instid1(VALU_DEP_1)
	v_add_nc_u32_e32 v9, 1, v4
	v_cndmask_b32_e32 v72, v4, v9, vcc_lo
.LBB0_6:                                ;   in Loop: Header=BB0_2 Depth=1
	s_or_b32 exec_lo, exec_lo, s2
	s_delay_alu instid0(VALU_DEP_1) | instskip(NEXT) | instid1(VALU_DEP_2)
	v_mul_lo_u32 v4, v73, s24
	v_mul_lo_u32 v6, v72, s25
	s_load_b64 s[2:3], s[14:15], 0x0
	v_mad_u64_u32 v[9:10], null, v72, s24, 0
	s_load_b64 s[24:25], s[12:13], 0x0
	s_add_u32 s22, s22, 1
	s_addc_u32 s23, s23, 0
	s_add_u32 s12, s12, 8
	s_addc_u32 s13, s13, 0
	s_add_u32 s14, s14, 8
	s_delay_alu instid0(VALU_DEP_1) | instskip(SKIP_3) | instid1(VALU_DEP_2)
	v_add3_u32 v4, v10, v6, v4
	v_sub_co_u32 v10, vcc_lo, v7, v9
	s_addc_u32 s15, s15, 0
	s_add_u32 s20, s20, 8
	v_sub_co_ci_u32_e32 v4, vcc_lo, v8, v4, vcc_lo
	s_addc_u32 s21, s21, 0
	s_waitcnt lgkmcnt(0)
	s_delay_alu instid0(VALU_DEP_1)
	v_mul_lo_u32 v11, s2, v4
	v_mul_lo_u32 v12, s3, v10
	v_mad_u64_u32 v[6:7], null, s2, v10, v[1:2]
	v_mul_lo_u32 v4, s24, v4
	v_mul_lo_u32 v13, s25, v10
	v_mad_u64_u32 v[8:9], null, s24, v10, v[68:69]
	v_cmp_ge_u64_e64 s2, s[22:23], s[10:11]
	v_add3_u32 v2, v12, v7, v11
	s_delay_alu instid0(VALU_DEP_3) | instskip(NEXT) | instid1(VALU_DEP_4)
	v_dual_mov_b32 v1, v6 :: v_dual_mov_b32 v68, v8
	v_add3_u32 v69, v13, v9, v4
	s_delay_alu instid0(VALU_DEP_4)
	s_and_b32 vcc_lo, exec_lo, s2
	s_cbranch_vccnz .LBB0_8
; %bb.7:                                ;   in Loop: Header=BB0_2 Depth=1
	v_dual_mov_b32 v7, v72 :: v_dual_mov_b32 v8, v73
	s_branch .LBB0_2
.LBB0_8:
	s_load_b64 s[0:1], s[0:1], 0x28
	v_mul_hi_u32 v4, 0xaaaaaaab, v3
	v_mul_hi_u32 v6, 0xf0f0f10, v0
	s_lshl_b64 s[10:11], s[10:11], 3
                                        ; implicit-def: $vgpr70
	s_delay_alu instid0(SALU_CYCLE_1) | instskip(SKIP_1) | instid1(VALU_DEP_2)
	s_add_u32 s2, s18, s10
	s_addc_u32 s3, s19, s11
	v_lshrrev_b32_e32 v4, 1, v4
	s_delay_alu instid0(VALU_DEP_1) | instskip(NEXT) | instid1(VALU_DEP_1)
	v_lshl_add_u32 v4, v4, 1, v4
	v_sub_nc_u32_e32 v3, v3, v4
	s_waitcnt lgkmcnt(0)
	v_cmp_gt_u64_e32 vcc_lo, s[0:1], v[72:73]
	v_cmp_le_u64_e64 s0, s[0:1], v[72:73]
                                        ; implicit-def: $vgpr4_vgpr5
	s_delay_alu instid0(VALU_DEP_1) | instskip(NEXT) | instid1(SALU_CYCLE_1)
	s_and_saveexec_b32 s1, s0
	s_xor_b32 s0, exec_lo, s1
; %bb.9:
	v_mul_u32_u24_e32 v1, 17, v6
	v_mov_b32_e32 v71, 0
                                        ; implicit-def: $vgpr6
	s_delay_alu instid0(VALU_DEP_2) | instskip(NEXT) | instid1(VALU_DEP_1)
	v_sub_nc_u32_e32 v70, v0, v1
                                        ; implicit-def: $vgpr0
                                        ; implicit-def: $vgpr1_vgpr2
	v_dual_mov_b32 v4, v70 :: v_dual_mov_b32 v5, v71
; %bb.10:
	s_or_saveexec_b32 s1, s0
	s_load_b64 s[2:3], s[2:3], 0x0
	v_mul_u32_u24_e32 v10, 0xef, v3
	s_delay_alu instid0(VALU_DEP_1)
	v_lshlrev_b32_e32 v78, 4, v10
	s_xor_b32 exec_lo, exec_lo, s1
	s_cbranch_execz .LBB0_14
; %bb.11:
	s_add_u32 s10, s16, s10
	s_addc_u32 s11, s17, s11
	v_lshlrev_b64 v[1:2], 4, v[1:2]
	s_load_b64 s[10:11], s[10:11], 0x0
	v_mov_b32_e32 v71, 0
	s_waitcnt lgkmcnt(0)
	v_mul_lo_u32 v5, s11, v72
	v_mul_lo_u32 v7, s10, v73
	v_mad_u64_u32 v[3:4], null, s10, v72, 0
	s_delay_alu instid0(VALU_DEP_1) | instskip(SKIP_1) | instid1(VALU_DEP_2)
	v_add3_u32 v4, v4, v7, v5
	v_mul_u32_u24_e32 v5, 17, v6
	v_lshlrev_b64 v[3:4], 4, v[3:4]
	s_delay_alu instid0(VALU_DEP_2) | instskip(NEXT) | instid1(VALU_DEP_2)
	v_sub_nc_u32_e32 v70, v0, v5
	v_add_co_u32 v0, s0, s4, v3
	s_delay_alu instid0(VALU_DEP_1) | instskip(NEXT) | instid1(VALU_DEP_3)
	v_add_co_ci_u32_e64 v3, s0, s5, v4, s0
	v_lshlrev_b32_e32 v4, 4, v70
	s_delay_alu instid0(VALU_DEP_3) | instskip(NEXT) | instid1(VALU_DEP_1)
	v_add_co_u32 v0, s0, v0, v1
	v_add_co_ci_u32_e64 v1, s0, v3, v2, s0
	s_mov_b32 s4, exec_lo
	s_delay_alu instid0(VALU_DEP_2) | instskip(NEXT) | instid1(VALU_DEP_1)
	v_add_co_u32 v2, s0, v0, v4
	v_add_co_ci_u32_e64 v3, s0, 0, v1, s0
	s_clause 0xd
	global_load_b128 v[6:9], v[2:3], off
	global_load_b128 v[11:14], v[2:3], off offset:272
	global_load_b128 v[15:18], v[2:3], off offset:544
	;; [unrolled: 1-line block ×13, first 2 shown]
	v_add3_u32 v2, 0, v78, v4
	v_dual_mov_b32 v4, v70 :: v_dual_mov_b32 v5, v71
	s_waitcnt vmcnt(13)
	ds_store_b128 v2, v[6:9]
	s_waitcnt vmcnt(12)
	ds_store_b128 v2, v[11:14] offset:272
	s_waitcnt vmcnt(11)
	ds_store_b128 v2, v[15:18] offset:544
	;; [unrolled: 2-line block ×13, first 2 shown]
	v_cmpx_eq_u32_e32 16, v70
	s_cbranch_execz .LBB0_13
; %bb.12:
	global_load_b128 v[6:9], v[0:1], off offset:3808
	v_mov_b32_e32 v4, 16
	v_dual_mov_b32 v5, 0 :: v_dual_mov_b32 v70, 16
	s_waitcnt vmcnt(0)
	ds_store_b128 v2, v[6:9] offset:3552
.LBB0_13:
	s_or_b32 exec_lo, exec_lo, s4
.LBB0_14:
	s_delay_alu instid0(SALU_CYCLE_1)
	s_or_b32 exec_lo, exec_lo, s1
	v_lshl_add_u32 v255, v10, 4, 0
	v_lshlrev_b32_e32 v0, 4, v70
	s_waitcnt lgkmcnt(0)
	s_barrier
	buffer_gl0_inv
	v_lshlrev_b64 v[111:112], 4, v[4:5]
	v_add_nc_u32_e32 v92, v255, v0
	v_sub_nc_u32_e32 v11, v255, v0
	s_mov_b32 s1, exec_lo
	ds_load_b64 v[6:7], v92
	ds_load_b64 v[8:9], v11 offset:3808
	s_waitcnt lgkmcnt(0)
	v_add_f64 v[0:1], v[6:7], v[8:9]
	v_add_f64 v[2:3], v[6:7], -v[8:9]
	v_cmpx_ne_u32_e32 0, v70
	s_xor_b32 s1, exec_lo, s1
	s_cbranch_execz .LBB0_16
; %bb.15:
	v_add_co_u32 v0, s0, s8, v111
	s_delay_alu instid0(VALU_DEP_1)
	v_add_co_ci_u32_e64 v1, s0, s9, v112, s0
	v_add_f64 v[14:15], v[6:7], v[8:9]
	v_add_f64 v[8:9], v[6:7], -v[8:9]
	global_load_b128 v[2:5], v[0:1], off offset:3536
	ds_load_b64 v[0:1], v11 offset:3816
	ds_load_b64 v[12:13], v92 offset:8
	s_waitcnt lgkmcnt(0)
	v_add_f64 v[6:7], v[0:1], v[12:13]
	v_add_f64 v[0:1], v[12:13], -v[0:1]
	s_waitcnt vmcnt(0)
	v_fma_f64 v[12:13], v[8:9], v[4:5], v[14:15]
	v_fma_f64 v[14:15], -v[8:9], v[4:5], v[14:15]
	s_delay_alu instid0(VALU_DEP_3) | instskip(SKIP_1) | instid1(VALU_DEP_4)
	v_fma_f64 v[16:17], v[6:7], v[4:5], -v[0:1]
	v_fma_f64 v[18:19], v[6:7], v[4:5], v[0:1]
	v_fma_f64 v[0:1], -v[6:7], v[2:3], v[12:13]
	s_delay_alu instid0(VALU_DEP_4) | instskip(NEXT) | instid1(VALU_DEP_4)
	v_fma_f64 v[4:5], v[6:7], v[2:3], v[14:15]
	v_fma_f64 v[6:7], v[8:9], v[2:3], v[16:17]
	s_delay_alu instid0(VALU_DEP_4)
	v_fma_f64 v[2:3], v[8:9], v[2:3], v[18:19]
	ds_store_b128 v11, v[4:7] offset:3808
.LBB0_16:
	s_and_not1_saveexec_b32 s0, s1
	s_cbranch_execz .LBB0_18
; %bb.17:
	ds_load_b128 v[4:7], v255 offset:1904
	s_waitcnt lgkmcnt(0)
	v_add_f64 v[4:5], v[4:5], v[4:5]
	v_mul_f64 v[6:7], v[6:7], -2.0
	ds_store_b128 v255, v[4:7] offset:1904
.LBB0_18:
	s_or_b32 exec_lo, exec_lo, s0
	v_mov_b32_e32 v71, 0
	s_add_u32 s0, s8, 0xdd0
	s_addc_u32 s1, s9, 0
	s_mov_b32 s33, exec_lo
	s_delay_alu instid0(VALU_DEP_1) | instskip(NEXT) | instid1(VALU_DEP_1)
	v_lshlrev_b64 v[113:114], 4, v[70:71]
	v_add_co_u32 v24, s0, s0, v113
	s_delay_alu instid0(VALU_DEP_1)
	v_add_co_ci_u32_e64 v25, s0, s1, v114, s0
	s_clause 0x1
	global_load_b128 v[4:7], v[24:25], off offset:272
	global_load_b128 v[12:15], v[24:25], off offset:544
	ds_store_b128 v92, v[0:3]
	ds_load_b128 v[0:3], v92 offset:272
	ds_load_b128 v[16:19], v11 offset:3536
	global_load_b128 v[20:23], v[24:25], off offset:816
	s_waitcnt lgkmcnt(0)
	v_add_f64 v[8:9], v[0:1], v[16:17]
	v_add_f64 v[26:27], v[18:19], v[2:3]
	v_add_f64 v[16:17], v[0:1], -v[16:17]
	v_add_f64 v[0:1], v[2:3], -v[18:19]
	s_waitcnt vmcnt(2)
	s_delay_alu instid0(VALU_DEP_2) | instskip(NEXT) | instid1(VALU_DEP_2)
	v_fma_f64 v[2:3], v[16:17], v[6:7], v[8:9]
	v_fma_f64 v[18:19], v[26:27], v[6:7], v[0:1]
	v_fma_f64 v[8:9], -v[16:17], v[6:7], v[8:9]
	v_fma_f64 v[28:29], v[26:27], v[6:7], -v[0:1]
	s_delay_alu instid0(VALU_DEP_4) | instskip(NEXT) | instid1(VALU_DEP_4)
	v_fma_f64 v[0:1], -v[26:27], v[4:5], v[2:3]
	v_fma_f64 v[2:3], v[16:17], v[4:5], v[18:19]
	s_delay_alu instid0(VALU_DEP_4) | instskip(NEXT) | instid1(VALU_DEP_4)
	v_fma_f64 v[6:7], v[26:27], v[4:5], v[8:9]
	v_fma_f64 v[8:9], v[16:17], v[4:5], v[28:29]
	ds_store_b128 v92, v[0:3] offset:272
	ds_store_b128 v11, v[6:9] offset:3536
	ds_load_b128 v[0:3], v92 offset:544
	ds_load_b128 v[4:7], v11 offset:3264
	global_load_b128 v[16:19], v[24:25], off offset:1088
	s_waitcnt lgkmcnt(0)
	v_add_f64 v[8:9], v[0:1], v[4:5]
	v_add_f64 v[26:27], v[6:7], v[2:3]
	v_add_f64 v[28:29], v[0:1], -v[4:5]
	v_add_f64 v[0:1], v[2:3], -v[6:7]
	s_waitcnt vmcnt(2)
	s_delay_alu instid0(VALU_DEP_2) | instskip(NEXT) | instid1(VALU_DEP_2)
	v_fma_f64 v[2:3], v[28:29], v[14:15], v[8:9]
	v_fma_f64 v[4:5], v[26:27], v[14:15], v[0:1]
	v_fma_f64 v[6:7], -v[28:29], v[14:15], v[8:9]
	v_fma_f64 v[8:9], v[26:27], v[14:15], -v[0:1]
	s_delay_alu instid0(VALU_DEP_4) | instskip(NEXT) | instid1(VALU_DEP_4)
	v_fma_f64 v[0:1], -v[26:27], v[12:13], v[2:3]
	v_fma_f64 v[2:3], v[28:29], v[12:13], v[4:5]
	s_delay_alu instid0(VALU_DEP_4) | instskip(NEXT) | instid1(VALU_DEP_4)
	v_fma_f64 v[4:5], v[26:27], v[12:13], v[6:7]
	v_fma_f64 v[6:7], v[28:29], v[12:13], v[8:9]
	ds_store_b128 v92, v[0:3] offset:544
	ds_store_b128 v11, v[4:7] offset:3264
	;; [unrolled: 22-line block ×4, first 2 shown]
	ds_load_b128 v[0:3], v92 offset:1360
	ds_load_b128 v[4:7], v11 offset:2448
	s_waitcnt lgkmcnt(0)
	v_add_f64 v[8:9], v[0:1], v[4:5]
	v_add_f64 v[16:17], v[6:7], v[2:3]
	v_add_f64 v[18:19], v[0:1], -v[4:5]
	v_add_f64 v[0:1], v[2:3], -v[6:7]
	s_waitcnt vmcnt(1)
	s_delay_alu instid0(VALU_DEP_2) | instskip(NEXT) | instid1(VALU_DEP_2)
	v_fma_f64 v[2:3], v[18:19], v[14:15], v[8:9]
	v_fma_f64 v[4:5], v[16:17], v[14:15], v[0:1]
	v_fma_f64 v[6:7], -v[18:19], v[14:15], v[8:9]
	v_fma_f64 v[8:9], v[16:17], v[14:15], -v[0:1]
	s_delay_alu instid0(VALU_DEP_4) | instskip(NEXT) | instid1(VALU_DEP_4)
	v_fma_f64 v[0:1], -v[16:17], v[12:13], v[2:3]
	v_fma_f64 v[2:3], v[18:19], v[12:13], v[4:5]
	s_delay_alu instid0(VALU_DEP_4) | instskip(NEXT) | instid1(VALU_DEP_4)
	v_fma_f64 v[4:5], v[16:17], v[12:13], v[6:7]
	v_fma_f64 v[6:7], v[18:19], v[12:13], v[8:9]
	ds_store_b128 v92, v[0:3] offset:1360
	ds_store_b128 v11, v[4:7] offset:2448
	ds_load_b128 v[0:3], v92 offset:1632
	ds_load_b128 v[4:7], v11 offset:2176
	s_waitcnt lgkmcnt(0)
	v_add_f64 v[8:9], v[0:1], v[4:5]
	v_add_f64 v[12:13], v[6:7], v[2:3]
	v_add_f64 v[14:15], v[0:1], -v[4:5]
	v_add_f64 v[0:1], v[2:3], -v[6:7]
	s_waitcnt vmcnt(0)
	s_delay_alu instid0(VALU_DEP_2) | instskip(NEXT) | instid1(VALU_DEP_2)
	v_fma_f64 v[2:3], v[14:15], v[22:23], v[8:9]
	v_fma_f64 v[4:5], v[12:13], v[22:23], v[0:1]
	v_fma_f64 v[6:7], -v[14:15], v[22:23], v[8:9]
	v_fma_f64 v[8:9], v[12:13], v[22:23], -v[0:1]
	s_delay_alu instid0(VALU_DEP_4) | instskip(NEXT) | instid1(VALU_DEP_4)
	v_fma_f64 v[0:1], -v[12:13], v[20:21], v[2:3]
	v_fma_f64 v[2:3], v[14:15], v[20:21], v[4:5]
	s_delay_alu instid0(VALU_DEP_4) | instskip(NEXT) | instid1(VALU_DEP_4)
	v_fma_f64 v[4:5], v[12:13], v[20:21], v[6:7]
	v_fma_f64 v[6:7], v[14:15], v[20:21], v[8:9]
	v_lshl_add_u32 v8, v70, 4, 0
	ds_store_b128 v92, v[0:3] offset:1632
	ds_store_b128 v11, v[4:7] offset:2176
	v_lshl_add_u32 v71, v10, 4, v8
	s_waitcnt lgkmcnt(0)
	s_barrier
	buffer_gl0_inv
	s_barrier
	buffer_gl0_inv
	ds_load_b128 v[0:3], v92
	ds_load_b128 v[8:11], v71 offset:224
	ds_load_b128 v[74:77], v71 offset:448
	ds_load_b128 v[16:19], v71 offset:672
	ds_load_b128 v[32:35], v71 offset:896
	ds_load_b128 v[40:43], v71 offset:1120
	ds_load_b128 v[48:51], v71 offset:1344
	ds_load_b128 v[56:59], v71 offset:1568
	ds_load_b128 v[64:67], v71 offset:1792
	ds_load_b128 v[60:63], v71 offset:2016
	ds_load_b128 v[52:55], v71 offset:2240
	ds_load_b128 v[44:47], v71 offset:2464
	ds_load_b128 v[36:39], v71 offset:2688
	ds_load_b128 v[28:31], v71 offset:2912
	ds_load_b128 v[20:23], v71 offset:3136
	ds_load_b128 v[12:15], v71 offset:3360
	ds_load_b128 v[4:7], v71 offset:3584
	s_waitcnt lgkmcnt(0)
	s_barrier
	buffer_gl0_inv
	v_cmpx_gt_u32_e32 14, v70
	s_cbranch_execz .LBB0_20
; %bb.19:
	s_clause 0x2
	scratch_store_b64 off, v[111:112], off
	scratch_store_b64 off, v[113:114], off offset:8
	scratch_store_b32 off, v78, off offset:16
	v_add_f64 v[78:79], v[2:3], v[10:11]
	v_add_f64 v[80:81], v[0:1], v[8:9]
	;; [unrolled: 1-line block ×3, first 2 shown]
	v_add_f64 v[197:198], v[66:67], -v[62:63]
	s_mov_b32 s18, 0x6c9a05f6
	s_mov_b32 s19, 0x3fe9895b
	s_mov_b32 s53, 0xbfe9895b
	s_mov_b32 s52, s18
	v_add_f64 v[147:148], v[64:65], -v[60:61]
	v_add_f64 v[26:27], v[74:75], v[12:13]
	s_mov_b32 s10, 0xc61f0d01
	s_mov_b32 s12, 0x6ed5f1bb
	;; [unrolled: 1-line block ×28, first 2 shown]
	v_add_f64 v[78:79], v[78:79], v[76:77]
	v_add_f64 v[80:81], v[80:81], v[74:75]
	s_mov_b32 s38, 0x5d8e7cdc
	s_mov_b32 s22, 0xacd6c6b4
	;; [unrolled: 1-line block ×16, first 2 shown]
	v_add_f64 v[157:158], v[58:59], v[54:55]
	v_add_f64 v[153:154], v[58:59], -v[54:55]
	v_mul_f64 v[165:166], v[197:198], s[34:35]
	v_mul_f64 v[163:164], v[90:91], s[14:15]
	;; [unrolled: 1-line block ×5, first 2 shown]
	v_add_f64 v[78:79], v[78:79], v[18:19]
	v_add_f64 v[80:81], v[80:81], v[16:17]
	v_mul_f64 v[191:192], v[157:158], s[4:5]
	v_mul_f64 v[193:194], v[153:154], s[44:45]
	;; [unrolled: 1-line block ×6, first 2 shown]
	v_add_f64 v[78:79], v[78:79], v[34:35]
	v_add_f64 v[80:81], v[80:81], v[32:33]
	s_delay_alu instid0(VALU_DEP_2) | instskip(NEXT) | instid1(VALU_DEP_2)
	v_add_f64 v[78:79], v[78:79], v[42:43]
	v_add_f64 v[80:81], v[80:81], v[40:41]
	s_delay_alu instid0(VALU_DEP_2) | instskip(NEXT) | instid1(VALU_DEP_2)
	;; [unrolled: 3-line block ×3, first 2 shown]
	v_add_f64 v[78:79], v[78:79], v[58:59]
	v_add_f64 v[80:81], v[80:81], v[56:57]
	v_add_f64 v[58:59], v[42:43], -v[38:39]
	s_delay_alu instid0(VALU_DEP_3) | instskip(NEXT) | instid1(VALU_DEP_3)
	v_add_f64 v[82:83], v[78:79], v[66:67]
	v_add_f64 v[84:85], v[80:81], v[64:65]
	v_add_f64 v[66:67], v[50:51], -v[46:47]
	v_add_f64 v[80:81], v[64:65], v[60:61]
	v_add_f64 v[64:65], v[56:57], -v[52:53]
	;; [unrolled: 2-line block ×3, first 2 shown]
	v_mul_f64 v[185:186], v[58:59], s[42:43]
	v_mul_f64 v[213:214], v[58:59], s[24:25]
	;; [unrolled: 1-line block ×3, first 2 shown]
	v_add_f64 v[82:83], v[82:83], v[62:63]
	v_add_f64 v[84:85], v[84:85], v[60:61]
	;; [unrolled: 1-line block ×3, first 2 shown]
	v_add_f64 v[50:51], v[34:35], -v[30:31]
	v_add_f64 v[60:61], v[48:49], v[44:45]
	v_add_f64 v[48:49], v[40:41], -v[36:37]
	v_mul_f64 v[189:190], v[66:67], s[52:53]
	v_mul_f64 v[217:218], v[66:67], s[16:17]
	;; [unrolled: 1-line block ×3, first 2 shown]
	v_add_f64 v[82:83], v[82:83], v[54:55]
	v_add_f64 v[84:85], v[84:85], v[52:53]
	;; [unrolled: 1-line block ×3, first 2 shown]
	v_add_f64 v[40:41], v[32:33], -v[28:29]
	v_add_f64 v[54:55], v[42:43], v[38:39]
	v_add_f64 v[42:43], v[18:19], -v[22:23]
	v_mul_f64 v[181:182], v[50:51], s[54:55]
	v_mul_f64 v[187:188], v[62:63], s[12:13]
	;; [unrolled: 1-line block ×6, first 2 shown]
	v_add_f64 v[82:83], v[82:83], v[46:47]
	v_add_f64 v[84:85], v[84:85], v[44:45]
	;; [unrolled: 1-line block ×3, first 2 shown]
	v_add_f64 v[34:35], v[76:77], -v[14:15]
	v_add_f64 v[44:45], v[32:33], v[28:29]
	v_add_f64 v[32:33], v[16:17], -v[20:21]
	v_mul_f64 v[177:178], v[42:43], s[28:29]
	v_mul_f64 v[183:184], v[54:55], s[10:11]
	;; [unrolled: 1-line block ×6, first 2 shown]
	v_add_f64 v[82:83], v[82:83], v[38:39]
	v_add_f64 v[84:85], v[84:85], v[36:37]
	;; [unrolled: 1-line block ×4, first 2 shown]
	v_mul_f64 v[173:174], v[34:35], s[46:47]
	v_mul_f64 v[179:180], v[46:47], s[14:15]
	;; [unrolled: 1-line block ×8, first 2 shown]
	v_add_f64 v[82:83], v[82:83], v[30:31]
	v_add_f64 v[84:85], v[84:85], v[28:29]
	;; [unrolled: 1-line block ×3, first 2 shown]
	v_add_f64 v[28:29], v[74:75], -v[12:13]
	v_mul_f64 v[175:176], v[38:39], s[20:21]
	v_mul_f64 v[203:204], v[38:39], s[12:13]
	;; [unrolled: 1-line block ×4, first 2 shown]
	v_add_f64 v[82:83], v[82:83], v[22:23]
	v_add_f64 v[84:85], v[84:85], v[20:21]
	v_mul_f64 v[171:172], v[30:31], s[26:27]
	v_mul_f64 v[199:200], v[30:31], s[14:15]
	;; [unrolled: 1-line block ×6, first 2 shown]
	v_add_f64 v[14:15], v[82:83], v[14:15]
	v_add_f64 v[82:83], v[10:11], v[6:7]
	v_add_f64 v[10:11], v[10:11], -v[6:7]
	v_add_f64 v[12:13], v[84:85], v[12:13]
	v_add_f64 v[84:85], v[8:9], -v[4:5]
	v_add_f64 v[8:9], v[8:9], v[4:5]
	v_add_f64 v[6:7], v[14:15], v[6:7]
	v_mul_f64 v[88:89], v[82:83], s[10:11]
	v_mul_f64 v[117:118], v[10:11], s[52:53]
	v_add_f64 v[4:5], v[12:13], v[4:5]
	v_mul_f64 v[95:96], v[82:83], s[20:21]
	v_mul_f64 v[97:98], v[82:83], s[26:27]
	;; [unrolled: 1-line block ×11, first 2 shown]
	v_fma_f64 v[105:106], v[84:85], s[16:17], v[88:89]
	v_fma_f64 v[131:132], v[8:9], s[12:13], v[117:118]
	v_fma_f64 v[117:118], v[8:9], s[12:13], -v[117:118]
	scratch_store_b128 off, v[4:7], off offset:20 ; 16-byte Folded Spill
	v_fma_f64 v[109:110], v[84:85], s[36:37], v[95:96]
	v_fma_f64 v[111:112], v[84:85], s[40:41], v[97:98]
	;; [unrolled: 1-line block ×15, first 2 shown]
	v_mul_f64 v[82:83], v[10:11], s[50:51]
	v_mul_f64 v[84:85], v[10:11], s[44:45]
	;; [unrolled: 1-line block ×3, first 2 shown]
	v_fma_f64 v[139:140], v[8:9], s[26:27], v[125:126]
	v_fma_f64 v[133:134], v[8:9], s[10:11], v[119:120]
	v_fma_f64 v[119:120], v[8:9], s[10:11], -v[119:120]
	v_fma_f64 v[135:136], v[8:9], s[14:15], v[121:122]
	v_fma_f64 v[121:122], v[8:9], s[14:15], -v[121:122]
	v_fma_f64 v[137:138], v[8:9], s[20:21], v[123:124]
	v_fma_f64 v[123:124], v[8:9], s[20:21], -v[123:124]
	v_fma_f64 v[125:126], v[8:9], s[26:27], -v[125:126]
	v_mul_f64 v[6:7], v[157:158], s[12:13]
	v_add_f64 v[131:132], v[0:1], v[131:132]
	v_add_f64 v[4:5], v[0:1], v[117:118]
	;; [unrolled: 1-line block ×5, first 2 shown]
	v_mul_f64 v[14:15], v[38:39], s[4:5]
	v_add_f64 v[103:104], v[2:3], v[103:104]
	v_add_f64 v[117:118], v[2:3], v[88:89]
	;; [unrolled: 1-line block ×5, first 2 shown]
	v_fma_f64 v[127:128], v[8:9], s[0:1], v[82:83]
	v_fma_f64 v[82:83], v[8:9], s[0:1], -v[82:83]
	v_fma_f64 v[129:130], v[8:9], s[4:5], v[84:85]
	v_fma_f64 v[84:85], v[8:9], s[4:5], -v[84:85]
	;; [unrolled: 2-line block ×3, first 2 shown]
	v_add_f64 v[10:11], v[2:3], v[99:100]
	v_add_f64 v[133:134], v[0:1], v[133:134]
	;; [unrolled: 1-line block ×8, first 2 shown]
	scratch_store_b64 off, v[4:5], off offset:100 ; 8-byte Folded Spill
	v_add_f64 v[4:5], v[2:3], v[105:106]
	v_add_f64 v[105:106], v[2:3], v[97:98]
	v_fma_f64 v[93:94], v[32:33], s[24:25], v[14:15]
	v_add_f64 v[99:100], v[0:1], v[127:128]
	v_add_f64 v[127:128], v[0:1], v[82:83]
	;; [unrolled: 1-line block ×4, first 2 shown]
	scratch_store_b64 off, v[4:5], off offset:92 ; 8-byte Folded Spill
	v_add_f64 v[4:5], v[2:3], v[109:110]
	v_add_f64 v[109:110], v[2:3], v[95:96]
	scratch_store_b64 off, v[4:5], off offset:84 ; 8-byte Folded Spill
	v_add_f64 v[4:5], v[2:3], v[111:112]
	v_add_f64 v[111:112], v[2:3], v[115:116]
	scratch_store_b64 off, v[4:5], off offset:76 ; 8-byte Folded Spill
	v_add_f64 v[4:5], v[0:1], v[139:140]
	scratch_store_b64 off, v[4:5], off offset:68 ; 8-byte Folded Spill
	v_add_f64 v[4:5], v[2:3], v[113:114]
	v_add_f64 v[113:114], v[0:1], v[8:9]
	v_mul_f64 v[8:9], v[30:31], s[30:31]
	scratch_store_b64 off, v[4:5], off offset:60 ; 8-byte Folded Spill
	v_add_f64 v[4:5], v[0:1], v[141:142]
	v_fma_f64 v[0:1], v[28:29], s[38:39], v[8:9]
	v_fma_f64 v[8:9], v[28:29], s[48:49], v[8:9]
	s_delay_alu instid0(VALU_DEP_2) | instskip(SKIP_1) | instid1(VALU_DEP_3)
	v_add_f64 v[0:1], v[0:1], v[10:11]
	v_mul_f64 v[10:11], v[34:35], s[48:49]
	v_add_f64 v[8:9], v[8:9], v[12:13]
	v_fma_f64 v[12:13], v[32:33], s[44:45], v[14:15]
	v_fma_f64 v[14:15], v[80:81], s[14:15], -v[165:166]
	v_add_f64 v[0:1], v[93:94], v[0:1]
	v_fma_f64 v[2:3], v[26:27], s[30:31], v[10:11]
	v_mul_f64 v[93:94], v[42:43], s[44:45]
	v_fma_f64 v[10:11], v[26:27], s[30:31], -v[10:11]
	v_add_f64 v[8:9], v[12:13], v[8:9]
	s_delay_alu instid0(VALU_DEP_4) | instskip(NEXT) | instid1(VALU_DEP_4)
	v_add_f64 v[2:3], v[2:3], v[99:100]
	v_fma_f64 v[95:96], v[36:37], s[4:5], v[93:94]
	s_delay_alu instid0(VALU_DEP_4) | instskip(SKIP_2) | instid1(VALU_DEP_4)
	v_add_f64 v[10:11], v[10:11], v[127:128]
	v_fma_f64 v[12:13], v[36:37], s[4:5], -v[93:94]
	v_mul_f64 v[93:94], v[30:31], s[20:21]
	v_add_f64 v[2:3], v[95:96], v[2:3]
	v_mul_f64 v[95:96], v[46:47], s[26:27]
	s_delay_alu instid0(VALU_DEP_4) | instskip(NEXT) | instid1(VALU_DEP_2)
	v_add_f64 v[10:11], v[12:13], v[10:11]
	v_fma_f64 v[97:98], v[40:41], s[46:47], v[95:96]
	v_fma_f64 v[12:13], v[40:41], s[40:41], v[95:96]
	v_mul_f64 v[95:96], v[34:35], s[36:37]
	s_delay_alu instid0(VALU_DEP_3) | instskip(SKIP_1) | instid1(VALU_DEP_4)
	v_add_f64 v[0:1], v[97:98], v[0:1]
	v_mul_f64 v[97:98], v[50:51], s[40:41]
	v_add_f64 v[8:9], v[12:13], v[8:9]
	s_delay_alu instid0(VALU_DEP_2) | instskip(SKIP_2) | instid1(VALU_DEP_3)
	v_fma_f64 v[99:100], v[44:45], s[26:27], v[97:98]
	v_fma_f64 v[12:13], v[44:45], s[26:27], -v[97:98]
	v_mul_f64 v[97:98], v[38:39], s[14:15]
	v_add_f64 v[2:3], v[99:100], v[2:3]
	v_mul_f64 v[99:100], v[54:55], s[12:13]
	s_delay_alu instid0(VALU_DEP_4) | instskip(NEXT) | instid1(VALU_DEP_2)
	v_add_f64 v[10:11], v[12:13], v[10:11]
	v_fma_f64 v[115:116], v[48:49], s[18:19], v[99:100]
	v_fma_f64 v[12:13], v[48:49], s[52:53], v[99:100]
	;; [unrolled: 1-line block ×4, first 2 shown]
	s_delay_alu instid0(VALU_DEP_4) | instskip(SKIP_2) | instid1(VALU_DEP_2)
	v_add_f64 v[0:1], v[115:116], v[0:1]
	v_mul_f64 v[115:116], v[58:59], s[52:53]
	v_add_f64 v[8:9], v[12:13], v[8:9]
	v_fma_f64 v[125:126], v[52:53], s[12:13], v[115:116]
	v_fma_f64 v[12:13], v[52:53], s[12:13], -v[115:116]
	s_delay_alu instid0(VALU_DEP_2) | instskip(SKIP_1) | instid1(VALU_DEP_3)
	v_add_f64 v[2:3], v[125:126], v[2:3]
	v_mul_f64 v[125:126], v[62:63], s[20:21]
	v_add_f64 v[10:11], v[12:13], v[10:11]
	s_delay_alu instid0(VALU_DEP_2) | instskip(SKIP_1) | instid1(VALU_DEP_2)
	v_fma_f64 v[139:140], v[56:57], s[28:29], v[125:126]
	v_fma_f64 v[12:13], v[56:57], s[36:37], v[125:126]
	v_add_f64 v[0:1], v[139:140], v[0:1]
	v_mul_f64 v[139:140], v[66:67], s[36:37]
	s_delay_alu instid0(VALU_DEP_3) | instskip(NEXT) | instid1(VALU_DEP_2)
	v_add_f64 v[8:9], v[12:13], v[8:9]
	v_fma_f64 v[141:142], v[60:61], s[20:21], v[139:140]
	v_fma_f64 v[12:13], v[60:61], s[20:21], -v[139:140]
	s_delay_alu instid0(VALU_DEP_2) | instskip(SKIP_1) | instid1(VALU_DEP_3)
	v_add_f64 v[2:3], v[141:142], v[2:3]
	v_mul_f64 v[141:142], v[157:158], s[10:11]
	v_add_f64 v[10:11], v[12:13], v[10:11]
	s_delay_alu instid0(VALU_DEP_2) | instskip(SKIP_1) | instid1(VALU_DEP_2)
	v_fma_f64 v[159:160], v[64:65], s[16:17], v[141:142]
	v_fma_f64 v[12:13], v[64:65], s[42:43], v[141:142]
	v_add_f64 v[0:1], v[159:160], v[0:1]
	v_mul_f64 v[159:160], v[153:154], s[42:43]
	s_delay_alu instid0(VALU_DEP_3) | instskip(NEXT) | instid1(VALU_DEP_2)
	v_add_f64 v[8:9], v[12:13], v[8:9]
	v_fma_f64 v[12:13], v[78:79], s[10:11], -v[159:160]
	v_fma_f64 v[161:162], v[78:79], s[10:11], v[159:160]
	s_delay_alu instid0(VALU_DEP_2) | instskip(NEXT) | instid1(VALU_DEP_2)
	v_add_f64 v[12:13], v[12:13], v[10:11]
	v_add_f64 v[161:162], v[161:162], v[2:3]
	v_fma_f64 v[2:3], v[147:148], s[54:55], v[163:164]
	v_fma_f64 v[10:11], v[147:148], s[34:35], v[163:164]
	v_mul_f64 v[163:164], v[90:91], s[10:11]
	v_add_f64 v[149:150], v[14:15], v[12:13]
	v_fma_f64 v[12:13], v[28:29], s[28:29], v[93:94]
	v_fma_f64 v[14:15], v[26:27], s[20:21], v[95:96]
	;; [unrolled: 1-line block ×3, first 2 shown]
	v_fma_f64 v[95:96], v[26:27], s[20:21], -v[95:96]
	v_add_f64 v[2:3], v[2:3], v[0:1]
	v_fma_f64 v[0:1], v[80:81], s[14:15], v[165:166]
	v_mul_f64 v[165:166], v[197:198], s[42:43]
	v_add_f64 v[151:152], v[10:11], v[8:9]
	v_mul_f64 v[8:9], v[66:67], s[44:45]
	v_add_f64 v[12:13], v[12:13], v[101:102]
	v_add_f64 v[14:15], v[14:15], v[129:130]
	;; [unrolled: 1-line block ×4, first 2 shown]
	v_mul_f64 v[143:144], v[54:55], s[14:15]
	v_add_f64 v[0:1], v[0:1], v[161:162]
	v_mul_f64 v[145:146], v[58:59], s[34:35]
	scratch_store_b64 off, v[4:5], off offset:52 ; 8-byte Folded Spill
	v_mul_f64 v[4:5], v[153:154], s[18:19]
	v_add_f64 v[12:13], v[99:100], v[12:13]
	v_mul_f64 v[99:100], v[42:43], s[54:55]
	v_add_f64 v[93:94], v[97:98], v[93:94]
	scratch_store_b128 off, v[0:3], off offset:36 ; 16-byte Folded Spill
	v_dual_mov_b32 v2, v197 :: v_dual_mov_b32 v3, v198
	v_dual_mov_b32 v0, v90 :: v_dual_mov_b32 v1, v91
	v_mul_f64 v[90:91], v[46:47], s[30:31]
	s_delay_alu instid0(VALU_DEP_3) | instskip(SKIP_1) | instid1(VALU_DEP_4)
	v_mul_f64 v[197:198], v[2:3], s[50:51]
	v_mul_f64 v[225:226], v[2:3], s[48:49]
	;; [unrolled: 1-line block ×6, first 2 shown]
	v_fma_f64 v[101:102], v[36:37], s[14:15], v[99:100]
	v_fma_f64 v[97:98], v[36:37], s[14:15], -v[99:100]
	v_fma_f64 v[99:100], v[80:81], s[10:11], -v[165:166]
	s_delay_alu instid0(VALU_DEP_3) | instskip(SKIP_1) | instid1(VALU_DEP_4)
	v_add_f64 v[14:15], v[101:102], v[14:15]
	v_mul_f64 v[101:102], v[46:47], s[12:13]
	v_add_f64 v[95:96], v[97:98], v[95:96]
	s_delay_alu instid0(VALU_DEP_2) | instskip(SKIP_1) | instid1(VALU_DEP_2)
	v_fma_f64 v[115:116], v[40:41], s[52:53], v[101:102]
	v_fma_f64 v[97:98], v[40:41], s[18:19], v[101:102]
	v_add_f64 v[12:13], v[115:116], v[12:13]
	v_mul_f64 v[115:116], v[50:51], s[18:19]
	s_delay_alu instid0(VALU_DEP_3) | instskip(NEXT) | instid1(VALU_DEP_2)
	v_add_f64 v[93:94], v[97:98], v[93:94]
	v_fma_f64 v[125:126], v[44:45], s[12:13], v[115:116]
	v_fma_f64 v[97:98], v[44:45], s[12:13], -v[115:116]
	s_delay_alu instid0(VALU_DEP_2) | instskip(SKIP_1) | instid1(VALU_DEP_3)
	v_add_f64 v[14:15], v[125:126], v[14:15]
	v_mul_f64 v[125:126], v[54:55], s[30:31]
	v_add_f64 v[95:96], v[97:98], v[95:96]
	v_mul_f64 v[54:55], v[54:55], s[0:1]
	s_delay_alu instid0(VALU_DEP_3) | instskip(SKIP_2) | instid1(VALU_DEP_3)
	v_fma_f64 v[127:128], v[48:49], s[48:49], v[125:126]
	v_fma_f64 v[97:98], v[48:49], s[38:39], v[125:126]
	v_mul_f64 v[125:126], v[30:31], s[10:11]
	v_add_f64 v[12:13], v[127:128], v[12:13]
	v_mul_f64 v[127:128], v[58:59], s[38:39]
	s_delay_alu instid0(VALU_DEP_4) | instskip(SKIP_1) | instid1(VALU_DEP_3)
	v_add_f64 v[93:94], v[97:98], v[93:94]
	v_mul_f64 v[58:59], v[58:59], s[50:51]
	v_fma_f64 v[129:130], v[52:53], s[30:31], v[127:128]
	v_fma_f64 v[97:98], v[52:53], s[30:31], -v[127:128]
	v_mul_f64 v[127:128], v[34:35], s[16:17]
	s_delay_alu instid0(VALU_DEP_3) | instskip(SKIP_1) | instid1(VALU_DEP_4)
	v_add_f64 v[14:15], v[129:130], v[14:15]
	v_mul_f64 v[129:130], v[62:63], s[0:1]
	v_add_f64 v[95:96], v[97:98], v[95:96]
	s_delay_alu instid0(VALU_DEP_2) | instskip(SKIP_3) | instid1(VALU_DEP_4)
	v_fma_f64 v[139:140], v[56:57], s[22:23], v[129:130]
	v_fma_f64 v[97:98], v[56:57], s[50:51], v[129:130]
	v_mul_f64 v[129:130], v[38:39], s[30:31]
	v_mul_f64 v[38:39], v[38:39], s[26:27]
	v_add_f64 v[12:13], v[139:140], v[12:13]
	v_mul_f64 v[139:140], v[66:67], s[50:51]
	v_add_f64 v[93:94], v[97:98], v[93:94]
	v_fma_f64 v[101:102], v[32:33], s[48:49], v[129:130]
	s_delay_alu instid0(VALU_DEP_3) | instskip(SKIP_3) | instid1(VALU_DEP_4)
	v_fma_f64 v[141:142], v[60:61], s[0:1], v[139:140]
	v_fma_f64 v[97:98], v[60:61], s[0:1], -v[139:140]
	v_mul_f64 v[139:140], v[46:47], s[4:5]
	v_mul_f64 v[46:47], v[46:47], s[20:21]
	v_add_f64 v[14:15], v[141:142], v[14:15]
	v_mul_f64 v[141:142], v[157:158], s[26:27]
	v_add_f64 v[95:96], v[97:98], v[95:96]
	s_delay_alu instid0(VALU_DEP_2) | instskip(SKIP_3) | instid1(VALU_DEP_4)
	v_fma_f64 v[159:160], v[64:65], s[46:47], v[141:142]
	v_fma_f64 v[97:98], v[64:65], s[40:41], v[141:142]
	v_mul_f64 v[141:142], v[50:51], s[44:45]
	v_mul_f64 v[50:51], v[50:51], s[28:29]
	v_add_f64 v[12:13], v[159:160], v[12:13]
	v_mul_f64 v[159:160], v[153:154], s[40:41]
	v_add_f64 v[93:94], v[97:98], v[93:94]
	s_delay_alu instid0(VALU_DEP_2) | instskip(SKIP_2) | instid1(VALU_DEP_3)
	v_fma_f64 v[97:98], v[78:79], s[26:27], -v[159:160]
	v_fma_f64 v[161:162], v[78:79], s[26:27], v[159:160]
	v_mul_f64 v[159:160], v[62:63], s[26:27]
	v_add_f64 v[97:98], v[97:98], v[95:96]
	v_fma_f64 v[95:96], v[147:148], s[42:43], v[163:164]
	s_delay_alu instid0(VALU_DEP_4)
	v_add_f64 v[161:162], v[161:162], v[14:15]
	v_fma_f64 v[14:15], v[147:148], s[16:17], v[163:164]
	v_mul_f64 v[163:164], v[157:158], s[0:1]
	v_mul_f64 v[157:158], v[157:158], s[30:31]
	v_add_f64 v[95:96], v[95:96], v[93:94]
	v_add_f64 v[93:94], v[99:100], v[97:98]
	v_fma_f64 v[97:98], v[28:29], s[42:43], v[125:126]
	v_fma_f64 v[99:100], v[26:27], s[10:11], v[127:128]
	v_add_f64 v[84:85], v[14:15], v[12:13]
	v_fma_f64 v[12:13], v[80:81], s[10:11], v[165:166]
	v_mul_f64 v[165:166], v[153:154], s[50:51]
	v_fma_f64 v[14:15], v[60:61], s[4:5], -v[8:9]
	v_fma_f64 v[8:9], v[60:61], s[4:5], v[8:9]
	v_add_f64 v[97:98], v[97:98], v[103:104]
	v_add_f64 v[99:100], v[99:100], v[131:132]
	v_mul_f64 v[131:132], v[42:43], s[38:39]
	v_add_f64 v[82:83], v[12:13], v[161:162]
	v_mul_f64 v[161:162], v[66:67], s[46:47]
	v_fma_f64 v[103:104], v[26:27], s[26:27], -v[173:174]
	v_mul_f64 v[12:13], v[62:63], s[4:5]
	v_mul_f64 v[42:43], v[42:43], s[40:41]
	;; [unrolled: 1-line block ×4, first 2 shown]
	v_add_f64 v[97:98], v[101:102], v[97:98]
	v_fma_f64 v[101:102], v[36:37], s[30:31], v[131:132]
	v_add_f64 v[103:104], v[103:104], v[113:114]
	v_fma_f64 v[113:114], v[32:33], s[22:23], v[231:232]
	v_fma_f64 v[10:11], v[56:57], s[44:45], v[12:13]
	;; [unrolled: 1-line block ×3, first 2 shown]
	v_add_f64 v[99:100], v[101:102], v[99:100]
	v_fma_f64 v[101:102], v[40:41], s[24:25], v[139:140]
	s_delay_alu instid0(VALU_DEP_1) | instskip(SKIP_1) | instid1(VALU_DEP_1)
	v_add_f64 v[97:98], v[101:102], v[97:98]
	v_fma_f64 v[101:102], v[44:45], s[4:5], v[141:142]
	v_add_f64 v[99:100], v[101:102], v[99:100]
	v_fma_f64 v[101:102], v[48:49], s[54:55], v[143:144]
	s_delay_alu instid0(VALU_DEP_1) | instskip(SKIP_1) | instid1(VALU_DEP_1)
	v_add_f64 v[97:98], v[101:102], v[97:98]
	v_fma_f64 v[101:102], v[52:53], s[14:15], v[145:146]
	;; [unrolled: 5-line block ×6, first 2 shown]
	v_add_f64 v[101:102], v[111:112], v[101:102]
	v_fma_f64 v[111:112], v[36:37], s[20:21], -v[177:178]
	s_delay_alu instid0(VALU_DEP_1) | instskip(SKIP_1) | instid1(VALU_DEP_1)
	v_add_f64 v[103:104], v[111:112], v[103:104]
	v_fma_f64 v[111:112], v[40:41], s[54:55], v[179:180]
	v_add_f64 v[101:102], v[111:112], v[101:102]
	v_fma_f64 v[111:112], v[44:45], s[14:15], -v[181:182]
	s_delay_alu instid0(VALU_DEP_1) | instskip(SKIP_1) | instid1(VALU_DEP_1)
	v_add_f64 v[103:104], v[111:112], v[103:104]
	v_fma_f64 v[111:112], v[48:49], s[42:43], v[183:184]
	v_add_f64 v[101:102], v[111:112], v[101:102]
	v_fma_f64 v[111:112], v[52:53], s[10:11], -v[185:186]
	s_delay_alu instid0(VALU_DEP_1) | instskip(SKIP_1) | instid1(VALU_DEP_1)
	v_add_f64 v[103:104], v[111:112], v[103:104]
	v_fma_f64 v[111:112], v[56:57], s[52:53], v[187:188]
	v_add_f64 v[101:102], v[111:112], v[101:102]
	v_fma_f64 v[111:112], v[60:61], s[12:13], -v[189:190]
	s_delay_alu instid0(VALU_DEP_1) | instskip(SKIP_1) | instid1(VALU_DEP_1)
	v_add_f64 v[103:104], v[111:112], v[103:104]
	v_fma_f64 v[111:112], v[64:65], s[44:45], v[191:192]
	v_add_f64 v[101:102], v[111:112], v[101:102]
	v_fma_f64 v[111:112], v[78:79], s[4:5], -v[193:194]
	s_delay_alu instid0(VALU_DEP_1) | instskip(SKIP_1) | instid1(VALU_DEP_1)
	v_add_f64 v[111:112], v[111:112], v[103:104]
	v_fma_f64 v[103:104], v[147:148], s[50:51], v[195:196]
	v_add_f64 v[103:104], v[103:104], v[101:102]
	v_fma_f64 v[101:102], v[80:81], s[0:1], -v[197:198]
	s_delay_alu instid0(VALU_DEP_1) | instskip(SKIP_1) | instid1(VALU_DEP_1)
	v_add_f64 v[101:102], v[101:102], v[111:112]
	v_fma_f64 v[111:112], v[28:29], s[54:55], v[199:200]
	v_add_f64 v[105:106], v[111:112], v[105:106]
	v_fma_f64 v[111:112], v[26:27], s[14:15], -v[201:202]
	s_delay_alu instid0(VALU_DEP_1) | instskip(SKIP_1) | instid1(VALU_DEP_1)
	v_add_f64 v[107:108], v[111:112], v[107:108]
	v_fma_f64 v[111:112], v[32:33], s[52:53], v[203:204]
	v_add_f64 v[105:106], v[111:112], v[105:106]
	v_fma_f64 v[111:112], v[36:37], s[12:13], -v[205:206]
	s_delay_alu instid0(VALU_DEP_1) | instskip(SKIP_1) | instid1(VALU_DEP_1)
	v_add_f64 v[107:108], v[111:112], v[107:108]
	v_fma_f64 v[111:112], v[40:41], s[50:51], v[207:208]
	v_add_f64 v[105:106], v[111:112], v[105:106]
	v_fma_f64 v[111:112], v[44:45], s[0:1], -v[209:210]
	s_delay_alu instid0(VALU_DEP_1) | instskip(SKIP_1) | instid1(VALU_DEP_1)
	v_add_f64 v[107:108], v[111:112], v[107:108]
	v_fma_f64 v[111:112], v[48:49], s[24:25], v[211:212]
	v_add_f64 v[105:106], v[111:112], v[105:106]
	v_fma_f64 v[111:112], v[52:53], s[4:5], -v[213:214]
	s_delay_alu instid0(VALU_DEP_1) | instskip(SKIP_1) | instid1(VALU_DEP_1)
	v_add_f64 v[107:108], v[111:112], v[107:108]
	v_fma_f64 v[111:112], v[56:57], s[16:17], v[215:216]
	v_add_f64 v[105:106], v[111:112], v[105:106]
	v_fma_f64 v[111:112], v[60:61], s[10:11], -v[217:218]
	s_delay_alu instid0(VALU_DEP_1) | instskip(SKIP_1) | instid1(VALU_DEP_1)
	v_add_f64 v[107:108], v[111:112], v[107:108]
	v_fma_f64 v[111:112], v[64:65], s[36:37], v[219:220]
	v_add_f64 v[105:106], v[111:112], v[105:106]
	v_fma_f64 v[111:112], v[78:79], s[20:21], -v[221:222]
	s_delay_alu instid0(VALU_DEP_1) | instskip(SKIP_1) | instid1(VALU_DEP_1)
	v_add_f64 v[111:112], v[111:112], v[107:108]
	v_fma_f64 v[107:108], v[147:148], s[48:49], v[223:224]
	v_add_f64 v[107:108], v[107:108], v[105:106]
	v_fma_f64 v[105:106], v[80:81], s[30:31], -v[225:226]
	s_delay_alu instid0(VALU_DEP_1) | instskip(SKIP_1) | instid1(VALU_DEP_1)
	v_add_f64 v[105:106], v[105:106], v[111:112]
	v_fma_f64 v[111:112], v[28:29], s[52:53], v[227:228]
	v_add_f64 v[109:110], v[111:112], v[109:110]
	v_fma_f64 v[111:112], v[26:27], s[12:13], -v[229:230]
	s_delay_alu instid0(VALU_DEP_2) | instskip(NEXT) | instid1(VALU_DEP_2)
	v_add_f64 v[109:110], v[113:114], v[109:110]
	v_add_f64 v[111:112], v[111:112], v[123:124]
	v_fma_f64 v[113:114], v[36:37], s[0:1], -v[233:234]
	v_mul_f64 v[123:124], v[0:1], s[12:13]
	v_mul_f64 v[0:1], v[2:3], s[52:53]
	s_delay_alu instid0(VALU_DEP_3) | instskip(SKIP_1) | instid1(VALU_DEP_1)
	v_add_f64 v[111:112], v[113:114], v[111:112]
	v_fma_f64 v[113:114], v[40:41], s[16:17], v[235:236]
	v_add_f64 v[109:110], v[113:114], v[109:110]
	v_fma_f64 v[113:114], v[44:45], s[10:11], -v[237:238]
	s_delay_alu instid0(VALU_DEP_1) | instskip(SKIP_1) | instid1(VALU_DEP_1)
	v_add_f64 v[111:112], v[113:114], v[111:112]
	v_fma_f64 v[113:114], v[48:49], s[40:41], v[239:240]
	v_add_f64 v[109:110], v[113:114], v[109:110]
	v_fma_f64 v[113:114], v[52:53], s[26:27], -v[241:242]
	s_delay_alu instid0(VALU_DEP_1) | instskip(SKIP_1) | instid1(VALU_DEP_1)
	;; [unrolled: 5-line block ×5, first 2 shown]
	v_add_f64 v[109:110], v[109:110], v[113:114]
	v_fma_f64 v[113:114], v[28:29], s[50:51], v[74:75]
	v_add_f64 v[113:114], v[113:114], v[155:156]
	v_mul_f64 v[155:156], v[34:35], s[50:51]
	v_mul_f64 v[34:35], v[34:35], s[24:25]
	s_delay_alu instid0(VALU_DEP_2) | instskip(NEXT) | instid1(VALU_DEP_1)
	v_fma_f64 v[115:116], v[26:27], s[0:1], -v[155:156]
	v_add_f64 v[115:116], v[115:116], v[121:122]
	v_fma_f64 v[121:122], v[32:33], s[16:17], v[76:77]
	s_delay_alu instid0(VALU_DEP_1) | instskip(SKIP_2) | instid1(VALU_DEP_2)
	v_add_f64 v[113:114], v[121:122], v[113:114]
	v_fma_f64 v[121:122], v[36:37], s[10:11], -v[22:23]
	v_fma_f64 v[22:23], v[36:37], s[10:11], v[22:23]
	v_add_f64 v[115:116], v[121:122], v[115:116]
	v_fma_f64 v[121:122], v[40:41], s[48:49], v[90:91]
	s_delay_alu instid0(VALU_DEP_1) | instskip(SKIP_2) | instid1(VALU_DEP_2)
	v_add_f64 v[113:114], v[121:122], v[113:114]
	v_fma_f64 v[121:122], v[44:45], s[30:31], -v[20:21]
	v_fma_f64 v[20:21], v[44:45], s[30:31], v[20:21]
	v_add_f64 v[115:116], v[121:122], v[115:116]
	v_fma_f64 v[121:122], v[48:49], s[28:29], v[18:19]
	v_fma_f64 v[18:19], v[48:49], s[36:37], v[18:19]
	s_delay_alu instid0(VALU_DEP_2) | instskip(SKIP_2) | instid1(VALU_DEP_3)
	v_add_f64 v[113:114], v[121:122], v[113:114]
	v_fma_f64 v[121:122], v[52:53], s[20:21], -v[16:17]
	v_fma_f64 v[16:17], v[52:53], s[20:21], v[16:17]
	v_add_f64 v[10:11], v[10:11], v[113:114]
	s_delay_alu instid0(VALU_DEP_3) | instskip(SKIP_3) | instid1(VALU_DEP_4)
	v_add_f64 v[115:116], v[121:122], v[115:116]
	v_fma_f64 v[113:114], v[64:65], s[18:19], v[6:7]
	v_mul_f64 v[121:122], v[153:154], s[38:39]
	v_fma_f64 v[6:7], v[64:65], s[52:53], v[6:7]
	v_add_f64 v[14:15], v[14:15], v[115:116]
	s_delay_alu instid0(VALU_DEP_4) | instskip(SKIP_2) | instid1(VALU_DEP_2)
	v_add_f64 v[10:11], v[113:114], v[10:11]
	v_fma_f64 v[113:114], v[78:79], s[12:13], -v[4:5]
	v_fma_f64 v[4:5], v[78:79], s[12:13], v[4:5]
	v_add_f64 v[14:15], v[113:114], v[14:15]
	v_fma_f64 v[113:114], v[147:148], s[40:41], v[24:25]
	s_delay_alu instid0(VALU_DEP_1) | instskip(SKIP_3) | instid1(VALU_DEP_1)
	v_add_f64 v[115:116], v[113:114], v[10:11]
	v_mul_f64 v[10:11], v[2:3], s[40:41]
	scratch_load_b64 v[2:3], off, off offset:100 ; 8-byte Folded Reload
	v_fma_f64 v[113:114], v[80:81], s[26:27], -v[10:11]
	v_add_f64 v[113:114], v[113:114], v[14:15]
	v_mul_f64 v[14:15], v[30:31], s[4:5]
	s_delay_alu instid0(VALU_DEP_1) | instskip(SKIP_1) | instid1(VALU_DEP_2)
	v_fma_f64 v[30:31], v[28:29], s[24:25], v[14:15]
	v_fma_f64 v[14:15], v[28:29], s[44:45], v[14:15]
	v_add_f64 v[30:31], v[30:31], v[117:118]
	v_fma_f64 v[117:118], v[26:27], s[4:5], -v[34:35]
	s_delay_alu instid0(VALU_DEP_1) | instskip(SKIP_1) | instid1(VALU_DEP_1)
	v_add_f64 v[117:118], v[117:118], v[119:120]
	v_fma_f64 v[119:120], v[32:33], s[40:41], v[38:39]
	v_add_f64 v[30:31], v[119:120], v[30:31]
	v_fma_f64 v[119:120], v[36:37], s[26:27], -v[42:43]
	s_delay_alu instid0(VALU_DEP_1) | instskip(SKIP_1) | instid1(VALU_DEP_1)
	v_add_f64 v[117:118], v[119:120], v[117:118]
	;; [unrolled: 5-line block ×6, first 2 shown]
	v_fma_f64 v[119:120], v[147:148], s[52:53], v[123:124]
	v_add_f64 v[119:120], v[119:120], v[30:31]
	v_fma_f64 v[30:31], v[80:81], s[12:13], -v[0:1]
	v_fma_f64 v[0:1], v[80:81], s[12:13], v[0:1]
	s_delay_alu instid0(VALU_DEP_2) | instskip(SKIP_2) | instid1(VALU_DEP_2)
	v_add_f64 v[117:118], v[30:31], v[117:118]
	v_fma_f64 v[30:31], v[28:29], s[16:17], v[125:126]
	v_fma_f64 v[125:126], v[32:33], s[38:39], v[129:130]
	v_add_f64 v[30:31], v[30:31], v[86:87]
	v_fma_f64 v[86:87], v[26:27], s[10:11], -v[127:128]
	v_fma_f64 v[127:128], v[80:81], s[20:21], -v[169:170]
	s_delay_alu instid0(VALU_DEP_3) | instskip(SKIP_1) | instid1(VALU_DEP_3)
	v_add_f64 v[30:31], v[125:126], v[30:31]
	s_waitcnt vmcnt(0)
	v_add_f64 v[86:87], v[86:87], v[2:3]
	v_fma_f64 v[125:126], v[36:37], s[30:31], -v[131:132]
	scratch_load_b64 v[2:3], off, off offset:92 ; 8-byte Folded Reload
	v_add_f64 v[86:87], v[125:126], v[86:87]
	v_fma_f64 v[125:126], v[40:41], s[44:45], v[139:140]
	s_delay_alu instid0(VALU_DEP_1) | instskip(SKIP_1) | instid1(VALU_DEP_1)
	v_add_f64 v[30:31], v[125:126], v[30:31]
	v_fma_f64 v[125:126], v[44:45], s[4:5], -v[141:142]
	v_add_f64 v[86:87], v[125:126], v[86:87]
	v_fma_f64 v[125:126], v[48:49], s[34:35], v[143:144]
	s_delay_alu instid0(VALU_DEP_1) | instskip(SKIP_1) | instid1(VALU_DEP_1)
	v_add_f64 v[30:31], v[125:126], v[30:31]
	v_fma_f64 v[125:126], v[52:53], s[14:15], -v[145:146]
	;; [unrolled: 5-line block ×3, first 2 shown]
	v_add_f64 v[86:87], v[125:126], v[86:87]
	v_fma_f64 v[125:126], v[64:65], s[50:51], v[163:164]
	s_delay_alu instid0(VALU_DEP_1) | instskip(SKIP_4) | instid1(VALU_DEP_3)
	v_add_f64 v[30:31], v[125:126], v[30:31]
	v_fma_f64 v[125:126], v[78:79], s[0:1], -v[165:166]
	s_waitcnt vmcnt(0)
	v_add_f64 v[14:15], v[14:15], v[2:3]
	v_fma_f64 v[2:3], v[147:148], s[46:47], v[24:25]
	v_add_f64 v[86:87], v[125:126], v[86:87]
	v_fma_f64 v[125:126], v[147:148], s[36:37], v[167:168]
	s_delay_alu instid0(VALU_DEP_2) | instskip(NEXT) | instid1(VALU_DEP_2)
	v_add_f64 v[139:140], v[127:128], v[86:87]
	v_add_f64 v[141:142], v[125:126], v[30:31]
	v_fma_f64 v[30:31], v[26:27], s[4:5], v[34:35]
	v_fma_f64 v[34:35], v[32:33], s[46:47], v[38:39]
	s_delay_alu instid0(VALU_DEP_2) | instskip(NEXT) | instid1(VALU_DEP_2)
	v_add_f64 v[30:31], v[30:31], v[133:134]
	v_add_f64 v[14:15], v[34:35], v[14:15]
	v_fma_f64 v[34:35], v[36:37], s[26:27], v[42:43]
	s_delay_alu instid0(VALU_DEP_1) | instskip(SKIP_1) | instid1(VALU_DEP_1)
	v_add_f64 v[30:31], v[34:35], v[30:31]
	v_fma_f64 v[34:35], v[40:41], s[36:37], v[46:47]
	v_add_f64 v[14:15], v[34:35], v[14:15]
	v_fma_f64 v[34:35], v[44:45], s[20:21], v[50:51]
	s_delay_alu instid0(VALU_DEP_1) | instskip(SKIP_1) | instid1(VALU_DEP_1)
	v_add_f64 v[30:31], v[34:35], v[30:31]
	v_fma_f64 v[34:35], v[48:49], s[22:23], v[54:55]
	;; [unrolled: 5-line block ×4, first 2 shown]
	v_add_f64 v[14:15], v[34:35], v[14:15]
	v_fma_f64 v[34:35], v[78:79], s[30:31], v[121:122]
	s_delay_alu instid0(VALU_DEP_1) | instskip(SKIP_1) | instid1(VALU_DEP_2)
	v_add_f64 v[30:31], v[34:35], v[30:31]
	v_fma_f64 v[34:35], v[147:148], s[18:19], v[123:124]
	v_add_f64 v[125:126], v[0:1], v[30:31]
	s_delay_alu instid0(VALU_DEP_2) | instskip(SKIP_3) | instid1(VALU_DEP_3)
	v_add_f64 v[127:128], v[34:35], v[14:15]
	v_fma_f64 v[0:1], v[28:29], s[22:23], v[74:75]
	v_fma_f64 v[14:15], v[26:27], s[0:1], v[155:156]
	;; [unrolled: 1-line block ×3, first 2 shown]
	v_add_f64 v[0:1], v[0:1], v[88:89]
	s_delay_alu instid0(VALU_DEP_3) | instskip(NEXT) | instid1(VALU_DEP_2)
	v_add_f64 v[14:15], v[14:15], v[135:136]
	v_add_f64 v[0:1], v[30:31], v[0:1]
	s_delay_alu instid0(VALU_DEP_2) | instskip(SKIP_1) | instid1(VALU_DEP_2)
	v_add_f64 v[14:15], v[22:23], v[14:15]
	v_fma_f64 v[22:23], v[40:41], s[38:39], v[90:91]
	v_add_f64 v[14:15], v[20:21], v[14:15]
	s_delay_alu instid0(VALU_DEP_2) | instskip(NEXT) | instid1(VALU_DEP_2)
	v_add_f64 v[0:1], v[22:23], v[0:1]
	v_add_f64 v[14:15], v[16:17], v[14:15]
	s_delay_alu instid0(VALU_DEP_2) | instskip(NEXT) | instid1(VALU_DEP_2)
	v_add_f64 v[0:1], v[18:19], v[0:1]
	;; [unrolled: 3-line block ×3, first 2 shown]
	v_add_f64 v[4:5], v[4:5], v[8:9]
	s_delay_alu instid0(VALU_DEP_2)
	v_add_f64 v[0:1], v[6:7], v[0:1]
	v_fma_f64 v[6:7], v[80:81], s[26:27], v[10:11]
	scratch_load_b64 v[8:9], off, off offset:52 ; 8-byte Folded Reload
	v_add_f64 v[131:132], v[2:3], v[0:1]
	scratch_load_b64 v[2:3], off, off offset:84 ; 8-byte Folded Reload
	v_fma_f64 v[0:1], v[28:29], s[18:19], v[227:228]
	v_add_f64 v[129:130], v[6:7], v[4:5]
	v_fma_f64 v[4:5], v[32:33], s[50:51], v[231:232]
	v_fma_f64 v[6:7], v[80:81], s[4:5], v[253:254]
	s_waitcnt vmcnt(0)
	s_delay_alu instid0(VALU_DEP_4) | instskip(SKIP_1) | instid1(VALU_DEP_2)
	v_add_f64 v[0:1], v[0:1], v[2:3]
	v_fma_f64 v[2:3], v[26:27], s[12:13], v[229:230]
	v_add_f64 v[0:1], v[4:5], v[0:1]
	s_delay_alu instid0(VALU_DEP_2) | instskip(SKIP_1) | instid1(VALU_DEP_1)
	v_add_f64 v[2:3], v[2:3], v[137:138]
	v_fma_f64 v[4:5], v[36:37], s[0:1], v[233:234]
	v_add_f64 v[2:3], v[4:5], v[2:3]
	v_fma_f64 v[4:5], v[40:41], s[42:43], v[235:236]
	s_delay_alu instid0(VALU_DEP_1) | instskip(SKIP_1) | instid1(VALU_DEP_1)
	v_add_f64 v[0:1], v[4:5], v[0:1]
	v_fma_f64 v[4:5], v[44:45], s[10:11], v[237:238]
	v_add_f64 v[2:3], v[4:5], v[2:3]
	v_fma_f64 v[4:5], v[48:49], s[46:47], v[239:240]
	s_delay_alu instid0(VALU_DEP_1) | instskip(SKIP_1) | instid1(VALU_DEP_1)
	;; [unrolled: 5-line block ×4, first 2 shown]
	v_add_f64 v[0:1], v[4:5], v[0:1]
	v_fma_f64 v[4:5], v[78:79], s[14:15], v[249:250]
	v_add_f64 v[2:3], v[4:5], v[2:3]
	v_fma_f64 v[4:5], v[147:148], s[24:25], v[251:252]
	s_delay_alu instid0(VALU_DEP_2)
	v_add_f64 v[133:134], v[6:7], v[2:3]
	scratch_load_b64 v[2:3], off, off offset:76 ; 8-byte Folded Reload
	v_add_f64 v[135:136], v[4:5], v[0:1]
	scratch_load_b64 v[4:5], off, off offset:68 ; 8-byte Folded Reload
	v_fma_f64 v[0:1], v[28:29], s[34:35], v[199:200]
	v_fma_f64 v[6:7], v[80:81], s[30:31], v[225:226]
	s_waitcnt vmcnt(1)
	s_delay_alu instid0(VALU_DEP_2) | instskip(SKIP_2) | instid1(VALU_DEP_1)
	v_add_f64 v[0:1], v[0:1], v[2:3]
	v_fma_f64 v[2:3], v[26:27], s[14:15], v[201:202]
	s_waitcnt vmcnt(0)
	v_add_f64 v[2:3], v[2:3], v[4:5]
	v_fma_f64 v[4:5], v[32:33], s[18:19], v[203:204]
	s_delay_alu instid0(VALU_DEP_1) | instskip(SKIP_1) | instid1(VALU_DEP_1)
	v_add_f64 v[0:1], v[4:5], v[0:1]
	v_fma_f64 v[4:5], v[36:37], s[12:13], v[205:206]
	v_add_f64 v[2:3], v[4:5], v[2:3]
	v_fma_f64 v[4:5], v[40:41], s[22:23], v[207:208]
	s_delay_alu instid0(VALU_DEP_1) | instskip(SKIP_1) | instid1(VALU_DEP_1)
	v_add_f64 v[0:1], v[4:5], v[0:1]
	v_fma_f64 v[4:5], v[44:45], s[0:1], v[209:210]
	;; [unrolled: 5-line block ×5, first 2 shown]
	v_add_f64 v[2:3], v[4:5], v[2:3]
	v_fma_f64 v[4:5], v[147:148], s[38:39], v[223:224]
	s_delay_alu instid0(VALU_DEP_2)
	v_add_f64 v[86:87], v[6:7], v[2:3]
	scratch_load_b64 v[6:7], off, off offset:60 ; 8-byte Folded Reload
	v_add_f64 v[88:89], v[4:5], v[0:1]
	v_fma_f64 v[0:1], v[28:29], s[40:41], v[171:172]
	v_fma_f64 v[2:3], v[26:27], s[26:27], v[173:174]
	;; [unrolled: 1-line block ×3, first 2 shown]
	s_delay_alu instid0(VALU_DEP_2) | instskip(SKIP_4) | instid1(VALU_DEP_2)
	v_add_f64 v[2:3], v[2:3], v[8:9]
	v_fma_f64 v[8:9], v[40:41], s[34:35], v[179:180]
	s_waitcnt vmcnt(0)
	v_add_f64 v[0:1], v[0:1], v[6:7]
	v_fma_f64 v[6:7], v[36:37], s[20:21], v[177:178]
	v_add_f64 v[0:1], v[4:5], v[0:1]
	v_fma_f64 v[4:5], v[44:45], s[14:15], v[181:182]
	s_delay_alu instid0(VALU_DEP_3) | instskip(SKIP_1) | instid1(VALU_DEP_4)
	v_add_f64 v[2:3], v[6:7], v[2:3]
	v_fma_f64 v[6:7], v[48:49], s[16:17], v[183:184]
	v_add_f64 v[0:1], v[8:9], v[0:1]
	v_fma_f64 v[8:9], v[52:53], s[10:11], v[185:186]
	s_delay_alu instid0(VALU_DEP_4) | instskip(SKIP_1) | instid1(VALU_DEP_4)
	v_add_f64 v[2:3], v[4:5], v[2:3]
	v_fma_f64 v[4:5], v[56:57], s[18:19], v[187:188]
	v_add_f64 v[0:1], v[6:7], v[0:1]
	v_fma_f64 v[6:7], v[60:61], s[12:13], v[189:190]
	s_delay_alu instid0(VALU_DEP_4) | instskip(SKIP_1) | instid1(VALU_DEP_4)
	;; [unrolled: 5-line block ×3, first 2 shown]
	v_add_f64 v[2:3], v[6:7], v[2:3]
	v_fma_f64 v[6:7], v[147:148], s[22:23], v[195:196]
	v_add_f64 v[0:1], v[8:9], v[0:1]
	v_fma_f64 v[8:9], v[80:81], s[0:1], v[197:198]
	s_delay_alu instid0(VALU_DEP_4) | instskip(NEXT) | instid1(VALU_DEP_3)
	v_add_f64 v[2:3], v[4:5], v[2:3]
	v_add_f64 v[18:19], v[6:7], v[0:1]
	scratch_load_b32 v1, off, off offset:16 ; 4-byte Folded Reload
	v_mul_u32_u24_e32 v0, 0x110, v70
	v_add_f64 v[16:17], v[8:9], v[2:3]
	s_waitcnt vmcnt(0)
	s_delay_alu instid0(VALU_DEP_2)
	v_add3_u32 v0, 0, v0, v1
	scratch_load_b128 v[1:4], off, off offset:20 ; 16-byte Folded Reload
	s_waitcnt vmcnt(0)
	ds_store_b128 v0, v[1:4]
	ds_store_b128 v0, v[101:104] offset:16
	ds_store_b128 v0, v[105:108] offset:32
	;; [unrolled: 1-line block ×3, first 2 shown]
	scratch_load_b64 v[111:112], off, off   ; 8-byte Folded Reload
	ds_store_b128 v0, v[113:116] offset:64
	scratch_load_b64 v[113:114], off, off offset:8 ; 8-byte Folded Reload
	ds_store_b128 v0, v[117:120] offset:80
	ds_store_b128 v0, v[139:142] offset:96
	;; [unrolled: 1-line block ×4, first 2 shown]
	scratch_load_b128 v[1:4], off, off offset:36 ; 16-byte Folded Reload
	s_waitcnt vmcnt(0)
	ds_store_b128 v0, v[1:4] offset:144
	ds_store_b128 v0, v[82:85] offset:160
	;; [unrolled: 1-line block ×8, first 2 shown]
.LBB0_20:
	s_or_b32 exec_lo, exec_lo, s33
	v_mul_u32_u24_e32 v0, 6, v70
	s_waitcnt lgkmcnt(0)
	s_waitcnt_vscnt null, 0x0
	s_barrier
	buffer_gl0_inv
	s_mov_b32 s0, 0x37e14327
	v_lshlrev_b32_e32 v20, 4, v0
	s_mov_b32 s4, 0x36b3c0b5
	s_mov_b32 s10, 0xe976ee23
	;; [unrolled: 1-line block ×4, first 2 shown]
	s_clause 0x5
	global_load_b128 v[0:3], v20, s[8:9]
	global_load_b128 v[4:7], v20, s[8:9] offset:16
	global_load_b128 v[8:11], v20, s[8:9] offset:80
	;; [unrolled: 1-line block ×5, first 2 shown]
	ds_load_b128 v[24:27], v71 offset:544
	ds_load_b128 v[28:31], v71 offset:1088
	;; [unrolled: 1-line block ×12, first 2 shown]
	s_mov_b32 s5, 0x3fac98ee
	s_mov_b32 s11, 0xbfe11646
	s_mov_b32 s13, 0x3febfeb5
	s_mov_b32 s14, 0xaaaaaaaa
	s_mov_b32 s16, 0xb247c609
	s_mov_b32 s15, 0xbff2aaaa
	s_mov_b32 s17, 0x3fd5d0dc
	s_mov_b32 s19, 0xbfd5d0dc
	s_mov_b32 s18, s16
	s_waitcnt vmcnt(5) lgkmcnt(11)
	v_mul_f64 v[74:75], v[26:27], v[2:3]
	v_mul_f64 v[76:77], v[24:25], v[2:3]
	s_waitcnt vmcnt(4) lgkmcnt(10)
	v_mul_f64 v[82:83], v[30:31], v[6:7]
	v_mul_f64 v[84:85], v[28:29], v[6:7]
	;; [unrolled: 3-line block ×4, first 2 shown]
	s_waitcnt lgkmcnt(7)
	v_mul_f64 v[95:96], v[42:43], v[2:3]
	v_mul_f64 v[2:3], v[40:41], v[2:3]
	s_waitcnt lgkmcnt(6)
	v_mul_f64 v[97:98], v[46:47], v[6:7]
	v_mul_f64 v[6:7], v[44:45], v[6:7]
	;; [unrolled: 3-line block ×4, first 2 shown]
	s_waitcnt vmcnt(1) lgkmcnt(2)
	v_mul_f64 v[103:104], v[62:63], v[18:19]
	v_mul_f64 v[105:106], v[60:61], v[18:19]
	s_waitcnt vmcnt(0)
	v_mul_f64 v[107:108], v[58:59], v[22:23]
	v_mul_f64 v[109:110], v[56:57], v[22:23]
	v_fma_f64 v[24:25], v[24:25], v[0:1], -v[74:75]
	v_fma_f64 v[26:27], v[26:27], v[0:1], v[76:77]
	v_fma_f64 v[28:29], v[28:29], v[4:5], -v[82:83]
	v_fma_f64 v[30:31], v[30:31], v[4:5], v[84:85]
	;; [unrolled: 2-line block ×4, first 2 shown]
	s_waitcnt lgkmcnt(1)
	v_mul_f64 v[74:75], v[66:67], v[18:19]
	v_mul_f64 v[18:19], v[64:65], v[18:19]
	s_waitcnt lgkmcnt(0)
	v_mul_f64 v[76:77], v[80:81], v[22:23]
	v_mul_f64 v[22:23], v[78:79], v[22:23]
	v_fma_f64 v[40:41], v[40:41], v[0:1], -v[95:96]
	v_fma_f64 v[0:1], v[42:43], v[0:1], v[2:3]
	v_fma_f64 v[2:3], v[44:45], v[4:5], -v[97:98]
	v_fma_f64 v[4:5], v[46:47], v[4:5], v[6:7]
	;; [unrolled: 2-line block ×6, first 2 shown]
	v_add_f64 v[48:49], v[24:25], v[32:33]
	v_add_f64 v[50:51], v[26:27], v[34:35]
	;; [unrolled: 1-line block ×4, first 2 shown]
	v_fma_f64 v[56:57], v[64:65], v[16:17], -v[74:75]
	v_fma_f64 v[16:17], v[66:67], v[16:17], v[18:19]
	v_fma_f64 v[18:19], v[78:79], v[20:21], -v[76:77]
	v_fma_f64 v[20:21], v[80:81], v[20:21], v[22:23]
	v_add_f64 v[28:29], v[28:29], -v[36:37]
	v_add_f64 v[30:31], v[30:31], -v[38:39]
	;; [unrolled: 1-line block ×4, first 2 shown]
	v_add_f64 v[22:23], v[40:41], v[6:7]
	v_add_f64 v[58:59], v[0:1], v[8:9]
	;; [unrolled: 1-line block ×4, first 2 shown]
	v_add_f64 v[10:11], v[2:3], -v[10:11]
	v_add_f64 v[12:13], v[4:5], -v[12:13]
	v_add_f64 v[64:65], v[14:15], v[44:45]
	v_add_f64 v[66:67], v[42:43], v[46:47]
	v_add_f64 v[14:15], v[44:45], -v[14:15]
	v_add_f64 v[36:37], v[46:47], -v[42:43]
	;; [unrolled: 1-line block ×3, first 2 shown]
	v_add_f64 v[32:33], v[52:53], v[48:49]
	v_add_f64 v[34:35], v[54:55], v[50:51]
	;; [unrolled: 1-line block ×4, first 2 shown]
	v_add_f64 v[18:19], v[18:19], -v[56:57]
	v_add_f64 v[16:17], v[20:21], -v[16:17]
	;; [unrolled: 1-line block ×5, first 2 shown]
	ds_load_b128 v[0:3], v92
	ds_load_b128 v[4:7], v71 offset:272
	v_add_f64 v[40:41], v[60:61], v[22:23]
	v_add_f64 v[44:45], v[62:63], v[58:59]
	s_waitcnt lgkmcnt(0)
	s_barrier
	v_add_f64 v[46:47], v[48:49], -v[64:65]
	v_add_f64 v[56:57], v[50:51], -v[66:67]
	;; [unrolled: 1-line block ×9, first 2 shown]
	v_add_f64 v[28:29], v[14:15], v[28:29]
	v_add_f64 v[30:31], v[36:37], v[30:31]
	v_add_f64 v[14:15], v[24:25], -v[14:15]
	v_add_f64 v[36:37], v[26:27], -v[36:37]
	buffer_gl0_inv
	v_add_f64 v[32:33], v[64:65], v[32:33]
	v_add_f64 v[34:35], v[66:67], v[34:35]
	v_add_f64 v[64:65], v[22:23], -v[38:39]
	v_add_f64 v[66:67], v[58:59], -v[42:43]
	;; [unrolled: 1-line block ×5, first 2 shown]
	v_add_f64 v[10:11], v[18:19], v[10:11]
	v_add_f64 v[12:13], v[16:17], v[12:13]
	v_mul_f64 v[95:96], v[82:83], s[12:13]
	v_add_f64 v[40:41], v[38:39], v[40:41]
	v_add_f64 v[44:45], v[42:43], v[44:45]
	v_add_f64 v[38:39], v[38:39], -v[60:61]
	v_add_f64 v[42:43], v[42:43], -v[62:63]
	v_mul_f64 v[46:47], v[46:47], s[0:1]
	v_mul_f64 v[52:53], v[56:57], s[0:1]
	;; [unrolled: 1-line block ×7, first 2 shown]
	v_add_f64 v[18:19], v[20:21], -v[18:19]
	v_add_f64 v[16:17], v[8:9], -v[16:17]
	v_mul_f64 v[101:102], v[93:94], s[12:13]
	v_add_f64 v[22:23], v[60:61], -v[22:23]
	v_add_f64 v[58:59], v[62:63], -v[58:59]
	v_add_f64 v[24:25], v[28:29], v[24:25]
	v_add_f64 v[26:27], v[30:31], v[26:27]
	;; [unrolled: 1-line block ×4, first 2 shown]
	v_mul_f64 v[64:65], v[64:65], s[0:1]
	v_mul_f64 v[66:67], v[66:67], s[0:1]
	;; [unrolled: 1-line block ×5, first 2 shown]
	s_mov_b32 s0, 0x5476071b
	s_mov_b32 s1, 0x3fe77f67
	;; [unrolled: 1-line block ×3, first 2 shown]
	v_add_f64 v[4:5], v[4:5], v[40:41]
	v_add_f64 v[6:7], v[6:7], v[44:45]
	v_mul_f64 v[60:61], v[38:39], s[4:5]
	v_mul_f64 v[62:63], v[42:43], s[4:5]
	s_mov_b32 s10, s0
	v_add_f64 v[10:11], v[10:11], v[20:21]
	v_add_f64 v[8:9], v[12:13], v[8:9]
	v_fma_f64 v[12:13], v[74:75], s[4:5], v[46:47]
	v_fma_f64 v[20:21], v[76:77], s[4:5], v[52:53]
	v_fma_f64 v[28:29], v[48:49], s[0:1], -v[54:55]
	v_fma_f64 v[30:31], v[50:51], s[0:1], -v[56:57]
	v_fma_f64 v[54:55], v[14:15], s[16:17], v[78:79]
	v_fma_f64 v[56:57], v[36:37], s[16:17], v[80:81]
	v_fma_f64 v[74:75], v[82:83], s[12:13], -v[78:79]
	v_fma_f64 v[76:77], v[84:85], s[12:13], -v[80:81]
	;; [unrolled: 1-line block ×6, first 2 shown]
	v_fma_f64 v[32:33], v[32:33], s[14:15], v[0:1]
	v_fma_f64 v[34:35], v[34:35], s[14:15], v[2:3]
	;; [unrolled: 1-line block ×6, first 2 shown]
	v_fma_f64 v[78:79], v[90:91], s[12:13], -v[86:87]
	v_fma_f64 v[80:81], v[93:94], s[12:13], -v[88:89]
	;; [unrolled: 1-line block ×4, first 2 shown]
	v_fma_f64 v[40:41], v[40:41], s[14:15], v[4:5]
	v_fma_f64 v[44:45], v[44:45], s[14:15], v[6:7]
	v_fma_f64 v[64:65], v[22:23], s[10:11], -v[64:65]
	v_fma_f64 v[66:67], v[58:59], s[10:11], -v[66:67]
	v_fma_f64 v[22:23], v[22:23], s[0:1], -v[60:61]
	v_fma_f64 v[58:59], v[58:59], s[0:1], -v[62:63]
	s_mov_b32 s0, 0x37c3f68c
	s_mov_b32 s1, 0x3fdc38aa
	s_delay_alu instid0(SALU_CYCLE_1)
	v_fma_f64 v[54:55], v[24:25], s[0:1], v[54:55]
	v_fma_f64 v[56:57], v[26:27], s[0:1], v[56:57]
	;; [unrolled: 1-line block ×6, first 2 shown]
	v_add_f64 v[36:37], v[12:13], v[32:33]
	v_add_f64 v[76:77], v[20:21], v[34:35]
	;; [unrolled: 1-line block ×6, first 2 shown]
	v_fma_f64 v[82:83], v[10:11], s[0:1], v[50:51]
	v_fma_f64 v[52:53], v[8:9], s[0:1], v[52:53]
	;; [unrolled: 1-line block ×6, first 2 shown]
	v_add_f64 v[84:85], v[38:39], v[40:41]
	v_add_f64 v[86:87], v[42:43], v[44:45]
	;; [unrolled: 1-line block ×7, first 2 shown]
	v_add_f64 v[10:11], v[76:77], -v[54:55]
	v_add_f64 v[12:13], v[24:25], v[26:27]
	v_add_f64 v[14:15], v[46:47], -v[74:75]
	v_add_f64 v[16:17], v[20:21], -v[62:63]
	v_add_f64 v[18:19], v[60:61], v[28:29]
	v_add_f64 v[20:21], v[62:63], v[20:21]
	v_add_f64 v[22:23], v[28:29], -v[60:61]
	v_add_f64 v[24:25], v[26:27], -v[24:25]
	v_add_f64 v[26:27], v[74:75], v[46:47]
	v_add_f64 v[28:29], v[36:37], -v[56:57]
	v_add_f64 v[30:31], v[54:55], v[76:77]
	v_add_f64 v[32:33], v[52:53], v[84:85]
	v_add_f64 v[34:35], v[86:87], -v[82:83]
	v_add_f64 v[36:37], v[80:81], v[64:65]
	v_add_f64 v[38:39], v[66:67], -v[78:79]
	v_add_f64 v[40:41], v[88:89], -v[50:51]
	v_add_f64 v[42:43], v[48:49], v[58:59]
	v_add_f64 v[44:45], v[50:51], v[88:89]
	v_add_f64 v[46:47], v[58:59], -v[48:49]
	v_add_f64 v[48:49], v[64:65], -v[80:81]
	v_add_f64 v[50:51], v[78:79], v[66:67]
	v_add_f64 v[52:53], v[84:85], -v[52:53]
	v_add_f64 v[54:55], v[82:83], v[86:87]
	v_add_co_u32 v56, s0, s8, v111
	s_delay_alu instid0(VALU_DEP_1) | instskip(SKIP_1) | instid1(VALU_DEP_1)
	v_add_co_ci_u32_e64 v57, s0, s9, v112, s0
	v_add_co_u32 v58, s0, s8, v113
	v_add_co_ci_u32_e64 v59, s0, s9, v114, s0
	ds_store_b128 v71, v[0:3]
	ds_store_b128 v71, v[8:11] offset:272
	ds_store_b128 v71, v[12:15] offset:544
	;; [unrolled: 1-line block ×13, first 2 shown]
	s_waitcnt lgkmcnt(0)
	s_barrier
	buffer_gl0_inv
	s_clause 0x6
	global_load_b128 v[0:3], v[56:57], off offset:1632
	global_load_b128 v[4:7], v[58:59], off offset:1904
	;; [unrolled: 1-line block ×7, first 2 shown]
	ds_load_b128 v[28:31], v71 offset:1904
	ds_load_b128 v[32:35], v71 offset:2176
	;; [unrolled: 1-line block ×8, first 2 shown]
	s_waitcnt vmcnt(6) lgkmcnt(7)
	v_mul_f64 v[60:61], v[30:31], v[2:3]
	v_mul_f64 v[2:3], v[28:29], v[2:3]
	s_waitcnt vmcnt(5) lgkmcnt(6)
	v_mul_f64 v[62:63], v[34:35], v[6:7]
	v_mul_f64 v[6:7], v[32:33], v[6:7]
	;; [unrolled: 3-line block ×7, first 2 shown]
	v_fma_f64 v[28:29], v[28:29], v[0:1], -v[60:61]
	v_fma_f64 v[30:31], v[30:31], v[0:1], v[2:3]
	v_fma_f64 v[32:33], v[32:33], v[4:5], -v[62:63]
	v_fma_f64 v[34:35], v[34:35], v[4:5], v[6:7]
	;; [unrolled: 2-line block ×7, first 2 shown]
	ds_load_b128 v[0:3], v92
	ds_load_b128 v[4:7], v71 offset:272
	ds_load_b128 v[8:11], v71 offset:544
	;; [unrolled: 1-line block ×5, first 2 shown]
	s_waitcnt lgkmcnt(0)
	s_barrier
	buffer_gl0_inv
	v_add_f64 v[24:25], v[0:1], -v[28:29]
	v_add_f64 v[26:27], v[2:3], -v[30:31]
	;; [unrolled: 1-line block ×14, first 2 shown]
	v_fma_f64 v[0:1], v[0:1], 2.0, -v[24:25]
	v_fma_f64 v[2:3], v[2:3], 2.0, -v[26:27]
	;; [unrolled: 1-line block ×14, first 2 shown]
	ds_store_b128 v71, v[28:31] offset:2176
	ds_store_b128 v71, v[32:35] offset:2448
	ds_store_b128 v71, v[36:39] offset:2720
	ds_store_b128 v71, v[40:43] offset:2992
	ds_store_b128 v71, v[44:47] offset:3264
	ds_store_b128 v71, v[48:51] offset:3536
	ds_store_b128 v71, v[0:3]
	ds_store_b128 v71, v[4:7] offset:272
	ds_store_b128 v71, v[8:11] offset:544
	;; [unrolled: 1-line block ×7, first 2 shown]
	s_waitcnt lgkmcnt(0)
	s_barrier
	buffer_gl0_inv
	s_and_saveexec_b32 s0, vcc_lo
	s_cbranch_execz .LBB0_22
; %bb.21:
	v_mul_lo_u32 v2, s3, v72
	v_mul_lo_u32 v3, s2, v73
	v_mad_u64_u32 v[0:1], null, s2, v72, 0
	v_dual_mov_b32 v71, 0 :: v_dual_add_nc_u32 v10, 17, v70
	v_lshlrev_b64 v[8:9], 4, v[68:69]
	v_lshl_add_u32 v34, v70, 4, v255
	s_delay_alu instid0(VALU_DEP_3) | instskip(SKIP_4) | instid1(VALU_DEP_4)
	v_dual_mov_b32 v11, v71 :: v_dual_add_nc_u32 v12, 34, v70
	v_add3_u32 v1, v1, v3, v2
	v_lshlrev_b64 v[14:15], 4, v[70:71]
	v_dual_mov_b32 v13, v71 :: v_dual_add_nc_u32 v22, 51, v70
	v_dual_mov_b32 v23, v71 :: v_dual_add_nc_u32 v24, 0x44, v70
	v_lshlrev_b64 v[16:17], 4, v[0:1]
	ds_load_b128 v[0:3], v34
	ds_load_b128 v[4:7], v34 offset:272
	v_mov_b32_e32 v25, v71
	v_lshlrev_b64 v[22:23], 4, v[22:23]
	v_add_co_u32 v18, vcc_lo, s6, v16
	v_add_co_ci_u32_e32 v19, vcc_lo, s7, v17, vcc_lo
	v_lshlrev_b64 v[16:17], 4, v[10:11]
	s_delay_alu instid0(VALU_DEP_3) | instskip(NEXT) | instid1(VALU_DEP_3)
	v_add_co_u32 v36, vcc_lo, v18, v8
	v_add_co_ci_u32_e32 v37, vcc_lo, v19, v9, vcc_lo
	v_lshlrev_b64 v[18:19], 4, v[12:13]
	s_delay_alu instid0(VALU_DEP_3) | instskip(NEXT) | instid1(VALU_DEP_3)
	v_add_co_u32 v20, vcc_lo, v36, v14
	v_add_co_ci_u32_e32 v21, vcc_lo, v37, v15, vcc_lo
	ds_load_b128 v[8:11], v34 offset:544
	ds_load_b128 v[12:15], v34 offset:816
	v_add_co_u32 v16, vcc_lo, v36, v16
	v_add_co_ci_u32_e32 v17, vcc_lo, v37, v17, vcc_lo
	v_add_co_u32 v18, vcc_lo, v36, v18
	v_add_co_ci_u32_e32 v19, vcc_lo, v37, v19, vcc_lo
	;; [unrolled: 2-line block ×3, first 2 shown]
	s_waitcnt lgkmcnt(3)
	global_store_b128 v[20:21], v[0:3], off
	s_waitcnt lgkmcnt(2)
	global_store_b128 v[16:17], v[4:7], off
	;; [unrolled: 2-line block ×4, first 2 shown]
	v_add_nc_u32_e32 v8, 0x55, v70
	v_lshlrev_b64 v[0:1], 4, v[24:25]
	v_dual_mov_b32 v9, v71 :: v_dual_add_nc_u32 v10, 0x66, v70
	v_dual_mov_b32 v11, v71 :: v_dual_add_nc_u32 v22, 0x77, v70
	;; [unrolled: 1-line block ×3, first 2 shown]
	s_delay_alu instid0(VALU_DEP_4)
	v_add_co_u32 v16, vcc_lo, v36, v0
	v_add_co_ci_u32_e32 v17, vcc_lo, v37, v1, vcc_lo
	ds_load_b128 v[0:3], v34 offset:1088
	ds_load_b128 v[4:7], v34 offset:1360
	v_lshlrev_b64 v[18:19], 4, v[8:9]
	v_lshlrev_b64 v[20:21], 4, v[10:11]
	ds_load_b128 v[8:11], v34 offset:1632
	ds_load_b128 v[12:15], v34 offset:1904
	v_lshlrev_b64 v[22:23], 4, v[22:23]
	v_add_co_u32 v18, vcc_lo, v36, v18
	v_add_co_ci_u32_e32 v19, vcc_lo, v37, v19, vcc_lo
	v_add_co_u32 v20, vcc_lo, v36, v20
	v_add_co_ci_u32_e32 v21, vcc_lo, v37, v21, vcc_lo
	v_add_co_u32 v22, vcc_lo, v36, v22
	s_waitcnt lgkmcnt(3)
	global_store_b128 v[16:17], v[0:3], off
	s_waitcnt lgkmcnt(2)
	global_store_b128 v[18:19], v[4:7], off
	v_dual_mov_b32 v3, v71 :: v_dual_add_nc_u32 v2, 0x99, v70
	v_add_co_ci_u32_e32 v23, vcc_lo, v37, v23, vcc_lo
	v_lshlrev_b64 v[0:1], 4, v[24:25]
	s_waitcnt lgkmcnt(1)
	global_store_b128 v[20:21], v[8:11], off
	s_waitcnt lgkmcnt(0)
	global_store_b128 v[22:23], v[12:15], off
	v_lshlrev_b64 v[8:9], 4, v[2:3]
	v_dual_mov_b32 v11, v71 :: v_dual_add_nc_u32 v10, 0xaa, v70
	v_add_co_u32 v24, vcc_lo, v36, v0
	v_add_co_ci_u32_e32 v25, vcc_lo, v37, v1, vcc_lo
	s_delay_alu instid0(VALU_DEP_4)
	v_add_co_u32 v26, vcc_lo, v36, v8
	v_add_co_ci_u32_e32 v27, vcc_lo, v37, v9, vcc_lo
	v_lshlrev_b64 v[8:9], 4, v[10:11]
	v_dual_mov_b32 v17, v71 :: v_dual_add_nc_u32 v16, 0xbb, v70
	v_dual_mov_b32 v19, v71 :: v_dual_add_nc_u32 v18, 0xcc, v70
	ds_load_b128 v[0:3], v34 offset:2176
	ds_load_b128 v[4:7], v34 offset:2448
	v_add_co_u32 v28, vcc_lo, v36, v8
	v_add_co_ci_u32_e32 v29, vcc_lo, v37, v9, vcc_lo
	ds_load_b128 v[8:11], v34 offset:2720
	ds_load_b128 v[12:15], v34 offset:2992
	v_lshlrev_b64 v[30:31], 4, v[16:17]
	v_lshlrev_b64 v[32:33], 4, v[18:19]
	ds_load_b128 v[16:19], v34 offset:3264
	ds_load_b128 v[20:23], v34 offset:3536
	v_add_nc_u32_e32 v70, 0xdd, v70
	v_add_co_u32 v30, vcc_lo, v36, v30
	s_delay_alu instid0(VALU_DEP_2) | instskip(SKIP_3) | instid1(VALU_DEP_4)
	v_lshlrev_b64 v[34:35], 4, v[70:71]
	v_add_co_ci_u32_e32 v31, vcc_lo, v37, v31, vcc_lo
	v_add_co_u32 v32, vcc_lo, v36, v32
	v_add_co_ci_u32_e32 v33, vcc_lo, v37, v33, vcc_lo
	v_add_co_u32 v34, vcc_lo, v36, v34
	v_add_co_ci_u32_e32 v35, vcc_lo, v37, v35, vcc_lo
	s_waitcnt lgkmcnt(5)
	global_store_b128 v[24:25], v[0:3], off
	s_waitcnt lgkmcnt(4)
	global_store_b128 v[26:27], v[4:7], off
	s_waitcnt lgkmcnt(3)
	global_store_b128 v[28:29], v[8:11], off
	s_waitcnt lgkmcnt(2)
	global_store_b128 v[30:31], v[12:15], off
	s_waitcnt lgkmcnt(1)
	global_store_b128 v[32:33], v[16:19], off
	s_waitcnt lgkmcnt(0)
	global_store_b128 v[34:35], v[20:23], off
.LBB0_22:
	s_nop 0
	s_sendmsg sendmsg(MSG_DEALLOC_VGPRS)
	s_endpgm
	.section	.rodata,"a",@progbits
	.p2align	6, 0x0
	.amdhsa_kernel fft_rtc_fwd_len238_factors_17_7_2_wgs_51_tpt_17_halfLds_dp_op_CI_CI_unitstride_sbrr_C2R_dirReg
		.amdhsa_group_segment_fixed_size 0
		.amdhsa_private_segment_fixed_size 112
		.amdhsa_kernarg_size 104
		.amdhsa_user_sgpr_count 15
		.amdhsa_user_sgpr_dispatch_ptr 0
		.amdhsa_user_sgpr_queue_ptr 0
		.amdhsa_user_sgpr_kernarg_segment_ptr 1
		.amdhsa_user_sgpr_dispatch_id 0
		.amdhsa_user_sgpr_private_segment_size 0
		.amdhsa_wavefront_size32 1
		.amdhsa_uses_dynamic_stack 0
		.amdhsa_enable_private_segment 1
		.amdhsa_system_sgpr_workgroup_id_x 1
		.amdhsa_system_sgpr_workgroup_id_y 0
		.amdhsa_system_sgpr_workgroup_id_z 0
		.amdhsa_system_sgpr_workgroup_info 0
		.amdhsa_system_vgpr_workitem_id 0
		.amdhsa_next_free_vgpr 256
		.amdhsa_next_free_sgpr 56
		.amdhsa_reserve_vcc 1
		.amdhsa_float_round_mode_32 0
		.amdhsa_float_round_mode_16_64 0
		.amdhsa_float_denorm_mode_32 3
		.amdhsa_float_denorm_mode_16_64 3
		.amdhsa_dx10_clamp 1
		.amdhsa_ieee_mode 1
		.amdhsa_fp16_overflow 0
		.amdhsa_workgroup_processor_mode 1
		.amdhsa_memory_ordered 1
		.amdhsa_forward_progress 0
		.amdhsa_shared_vgpr_count 0
		.amdhsa_exception_fp_ieee_invalid_op 0
		.amdhsa_exception_fp_denorm_src 0
		.amdhsa_exception_fp_ieee_div_zero 0
		.amdhsa_exception_fp_ieee_overflow 0
		.amdhsa_exception_fp_ieee_underflow 0
		.amdhsa_exception_fp_ieee_inexact 0
		.amdhsa_exception_int_div_zero 0
	.end_amdhsa_kernel
	.text
.Lfunc_end0:
	.size	fft_rtc_fwd_len238_factors_17_7_2_wgs_51_tpt_17_halfLds_dp_op_CI_CI_unitstride_sbrr_C2R_dirReg, .Lfunc_end0-fft_rtc_fwd_len238_factors_17_7_2_wgs_51_tpt_17_halfLds_dp_op_CI_CI_unitstride_sbrr_C2R_dirReg
                                        ; -- End function
	.section	.AMDGPU.csdata,"",@progbits
; Kernel info:
; codeLenInByte = 14188
; NumSgprs: 58
; NumVgprs: 256
; ScratchSize: 112
; MemoryBound: 0
; FloatMode: 240
; IeeeMode: 1
; LDSByteSize: 0 bytes/workgroup (compile time only)
; SGPRBlocks: 7
; VGPRBlocks: 31
; NumSGPRsForWavesPerEU: 58
; NumVGPRsForWavesPerEU: 256
; Occupancy: 5
; WaveLimiterHint : 1
; COMPUTE_PGM_RSRC2:SCRATCH_EN: 1
; COMPUTE_PGM_RSRC2:USER_SGPR: 15
; COMPUTE_PGM_RSRC2:TRAP_HANDLER: 0
; COMPUTE_PGM_RSRC2:TGID_X_EN: 1
; COMPUTE_PGM_RSRC2:TGID_Y_EN: 0
; COMPUTE_PGM_RSRC2:TGID_Z_EN: 0
; COMPUTE_PGM_RSRC2:TIDIG_COMP_CNT: 0
	.text
	.p2alignl 7, 3214868480
	.fill 96, 4, 3214868480
	.type	__hip_cuid_bba84e94d135ba72,@object ; @__hip_cuid_bba84e94d135ba72
	.section	.bss,"aw",@nobits
	.globl	__hip_cuid_bba84e94d135ba72
__hip_cuid_bba84e94d135ba72:
	.byte	0                               ; 0x0
	.size	__hip_cuid_bba84e94d135ba72, 1

	.ident	"AMD clang version 19.0.0git (https://github.com/RadeonOpenCompute/llvm-project roc-6.4.0 25133 c7fe45cf4b819c5991fe208aaa96edf142730f1d)"
	.section	".note.GNU-stack","",@progbits
	.addrsig
	.addrsig_sym __hip_cuid_bba84e94d135ba72
	.amdgpu_metadata
---
amdhsa.kernels:
  - .args:
      - .actual_access:  read_only
        .address_space:  global
        .offset:         0
        .size:           8
        .value_kind:     global_buffer
      - .offset:         8
        .size:           8
        .value_kind:     by_value
      - .actual_access:  read_only
        .address_space:  global
        .offset:         16
        .size:           8
        .value_kind:     global_buffer
      - .actual_access:  read_only
        .address_space:  global
        .offset:         24
        .size:           8
        .value_kind:     global_buffer
      - .actual_access:  read_only
        .address_space:  global
        .offset:         32
        .size:           8
        .value_kind:     global_buffer
      - .offset:         40
        .size:           8
        .value_kind:     by_value
      - .actual_access:  read_only
        .address_space:  global
        .offset:         48
        .size:           8
        .value_kind:     global_buffer
      - .actual_access:  read_only
        .address_space:  global
        .offset:         56
        .size:           8
        .value_kind:     global_buffer
      - .offset:         64
        .size:           4
        .value_kind:     by_value
      - .actual_access:  read_only
        .address_space:  global
        .offset:         72
        .size:           8
        .value_kind:     global_buffer
      - .actual_access:  read_only
        .address_space:  global
        .offset:         80
        .size:           8
        .value_kind:     global_buffer
      - .actual_access:  read_only
        .address_space:  global
        .offset:         88
        .size:           8
        .value_kind:     global_buffer
      - .actual_access:  write_only
        .address_space:  global
        .offset:         96
        .size:           8
        .value_kind:     global_buffer
    .group_segment_fixed_size: 0
    .kernarg_segment_align: 8
    .kernarg_segment_size: 104
    .language:       OpenCL C
    .language_version:
      - 2
      - 0
    .max_flat_workgroup_size: 51
    .name:           fft_rtc_fwd_len238_factors_17_7_2_wgs_51_tpt_17_halfLds_dp_op_CI_CI_unitstride_sbrr_C2R_dirReg
    .private_segment_fixed_size: 112
    .sgpr_count:     58
    .sgpr_spill_count: 0
    .symbol:         fft_rtc_fwd_len238_factors_17_7_2_wgs_51_tpt_17_halfLds_dp_op_CI_CI_unitstride_sbrr_C2R_dirReg.kd
    .uniform_work_group_size: 1
    .uses_dynamic_stack: false
    .vgpr_count:     256
    .vgpr_spill_count: 27
    .wavefront_size: 32
    .workgroup_processor_mode: 1
amdhsa.target:   amdgcn-amd-amdhsa--gfx1100
amdhsa.version:
  - 1
  - 2
...

	.end_amdgpu_metadata
